;; amdgpu-corpus repo=ROCm/aiter kind=harvested arch=n/a opt=n/a

/root/src/amdgpu-assembly/repos/ROCm__aiter/hsa/gfx942/fmoe_2stages/fmoe_stage1_bf16_pertokenInt8_g1u1_32x512_pf3.co:	file format elf64-amdgpu

Disassembly of section .text:

0000000000002a00 <_ZN5aiter45fmoe_stage1_bf16_pertokenInt8_g1u1_32x512_pf3E>:
	s_and_b32 s1, s1, 0xffff                                   // 000000002A00: 8601FF01 0000FFFF
	s_load_dwordx2 s[8:9], s[0:1], 0x0                         // 000000002A08: C0060200 00000000
	s_load_dwordx2 s[20:21], s[0:1], 0x10                      // 000000002A10: C0060500 00000010
	s_load_dwordx2 s[24:25], s[0:1], 0x20                      // 000000002A18: C0060600 00000020
	s_load_dwordx2 s[48:49], s[0:1], 0x30                      // 000000002A20: C0060C00 00000030
	s_load_dwordx2 s[28:29], s[0:1], 0x40                      // 000000002A28: C0060700 00000040
	s_load_dwordx2 s[32:33], s[0:1], 0x50                      // 000000002A30: C0060800 00000050
	s_load_dwordx2 s[36:37], s[0:1], 0x60                      // 000000002A38: C0060900 00000060
	s_load_dwordx2 s[12:13], s[0:1], 0x70                      // 000000002A40: C0060300 00000070
	s_load_dwordx2 s[44:45], s[0:1], 0x80                      // 000000002A48: C0060B00 00000080
	s_mov_b32 s89, 0                                           // 000000002A50: BED90080
	s_load_dword s64, s[0:1], 0x90                             // 000000002A54: C0021000 00000090
	s_load_dword s65, s[0:1], 0xa0                             // 000000002A5C: C0021040 000000A0
	s_load_dword s66, s[0:1], 0xb0                             // 000000002A64: C0021080 000000B0
	s_load_dword s67, s[0:1], 0xc0                             // 000000002A6C: C00210C0 000000C0
	s_load_dword s68, s[0:1], 0xd0                             // 000000002A74: C0021100 000000D0
	s_load_dword s69, s[0:1], 0xe0                             // 000000002A7C: C0021140 000000E0
	s_load_dword s71, s[0:1], 0xf0                             // 000000002A84: C00211C0 000000F0
	s_load_dword s72, s[0:1], 0x100                            // 000000002A8C: C0021200 00000100
	s_load_dword s74, s[0:1], 0x110                            // 000000002A94: C0021280 00000110
	s_load_dword s76, s[0:1], 0x120                            // 000000002A9C: C0021300 00000120
	s_load_dword s56, s[0:1], 0x130                            // 000000002AA4: C0020E00 00000130
	s_load_dword s88, s[0:1], 0x140                            // 000000002AAC: C0021600 00000140
	s_load_dword s89, s[0:1], 0x150                            // 000000002AB4: C0021640 00000150
	v_lshrrev_b32_e32 v1, 10, v0                               // 000000002ABC: 2002008A
	v_lshrrev_b32_e32 v2, 10, v1                               // 000000002AC0: 2004028A
	v_and_b32_e32 v2, 0x3ff, v2                                // 000000002AC4: 260404FF 000003FF
	v_and_b32_e32 v1, 0x3ff, v1                                // 000000002ACC: 260202FF 000003FF
	v_and_b32_e32 v0, 0x3ff, v0                                // 000000002AD4: 260000FF 000003FF
	v_lshrrev_b32_e32 v3, 6, v0                                // 000000002ADC: 20060086
	v_and_b32_e32 v0, 63, v0                                   // 000000002AE0: 260000BF
	s_mov_b32 s2, s2                                           // 000000002AE4: BE820002
	s_mov_b32 s3, s3                                           // 000000002AE8: BE830003
	s_mov_b32 s4, s4                                           // 000000002AEC: BE840004
	v_readfirstlane_b32 s7, v3                                 // 000000002AF0: 7E0E0503
	s_waitcnt lgkmcnt(0)                                       // 000000002AF4: BF8CC07F
	s_and_b32 s49, s49, 0xffff                                 // 000000002AF8: 8631FF31 0000FFFF
	s_load_dword s48, s[48:49], 0x0                            // 000000002B00: C0020C18 00000000
	s_and_b32 s45, s45, 0xffff                                 // 000000002B08: 862DFF2D 0000FFFF
	s_and_b32 s9, s9, 0xffff                                   // 000000002B10: 8609FF09 0000FFFF
	s_mul_i32 s60, s66, s68                                    // 000000002B18: 923C4442
	s_mul_i32 s61, s66, 4                                      // 000000002B1C: 923D8442
	s_mov_b32 s22, s60                                         // 000000002B20: BE96003C
	s_mov_b32 s26, -16                                         // 000000002B24: BE9A00D0
	s_mov_b32 s30, s61                                         // 000000002B28: BE9E003D
	s_mov_b32 s14, 0x80                                        // 000000002B2C: BE8E00FF 00000080
	s_mov_b32 s38, -16                                         // 000000002B34: BEA600D0
	s_mov_b32 s10, -16                                         // 000000002B38: BE8A00D0
	s_mov_b32 s34, 0x800                                       // 000000002B3C: BEA200FF 00000800
	s_mov_b32 s23, 0x20000                                     // 000000002B44: BE9700FF 00020000
	s_mov_b32 s27, 0x20000                                     // 000000002B4C: BE9B00FF 00020000
	s_mov_b32 s31, 0x20000                                     // 000000002B54: BE9F00FF 00020000
	s_mov_b32 s35, 0x20000                                     // 000000002B5C: BEA300FF 00020000
	s_mov_b32 s15, 0x20000                                     // 000000002B64: BE8F00FF 00020000
	s_mov_b32 s39, 0x20000                                     // 000000002B6C: BEA700FF 00020000
	s_mov_b32 s11, 0x20000                                     // 000000002B74: BE8B00FF 00020000
	s_and_b32 s21, s21, 0xffff                                 // 000000002B7C: 8615FF15 0000FFFF
	s_and_b32 s25, s25, 0xffff                                 // 000000002B84: 8619FF19 0000FFFF
	s_and_b32 s29, s29, 0xffff                                 // 000000002B8C: 861DFF1D 0000FFFF
	s_and_b32 s33, s33, 0xffff                                 // 000000002B94: 8621FF21 0000FFFF
	s_and_b32 s13, s13, 0xffff                                 // 000000002B9C: 860DFF0D 0000FFFF
	s_and_b32 s37, s37, 0xffff                                 // 000000002BA4: 8625FF25 0000FFFF
	s_or_b32 s21, s21, 0x40000                                 // 000000002BAC: 8715FF15 00040000
	s_or_b32 s25, s25, 0x40000                                 // 000000002BB4: 8719FF19 00040000
	s_or_b32 s29, s29, 0x40000                                 // 000000002BBC: 871DFF1D 00040000
	s_or_b32 s33, s33, 0x40000                                 // 000000002BC4: 8721FF21 00040000
	s_or_b32 s13, s13, 0x40000                                 // 000000002BCC: 870DFF0D 00040000
	s_or_b32 s37, s37, 0x40000                                 // 000000002BD4: 8725FF25 00040000
	v_accvgpr_write_b32 a223, 0                                // 000000002BDC: D3D940DF 18000080
	v_mov_b32_e32 v179, 0                                      // 000000002BE4: 7F660280
	s_waitcnt lgkmcnt(0)                                       // 000000002BE8: BF8CC07F
	s_mul_i32 s60, s3, 32                                      // 000000002BEC: 923CA003
	s_cmp_lt_i32 s60, s48                                      // 000000002BF0: BF04303C
	s_cbranch_scc0 label_2EE9                                  // 000000002BF4: BF842E68
	s_mov_b32 s80, 0                                           // 000000002BF8: BED00080
	s_lshr_b32 s81, s64, s88                                   // 000000002BFC: 8F515840
	s_mul_i32 s60, s3, 4                                       // 000000002C00: 923C8403
	s_add_u32 s44, s60, s44                                    // 000000002C04: 802C2C3C
	s_addc_u32 s45, 0, s45                                     // 000000002C08: 822D2D80
	s_load_dword s5, s[44:45], 0x0                             // 000000002C0C: C0020156 00000000
	s_mul_i32 s60, s3, 32                                      // 000000002C14: 923CA003
	s_mul_i32 s60, 4, s60                                      // 000000002C18: 923C3C84
	s_add_u32 s12, s60, s12                                    // 000000002C1C: 800C0C3C
	s_addc_u32 s13, 0, s13                                     // 000000002C20: 820D0D80
	v_and_b32_e32 v4, 15, v0                                   // 000000002C24: 2608008F
	v_lshlrev_b32_e32 v4, 2, v4                                // 000000002C28: 24080882
	buffer_load_dword v31, v4, s[12:15], 0 offen               // 000000002C2C: E0501000 80031F04
	v_add_u32_e32 v4, 64, v4                                   // 000000002C34: 680808C0
	buffer_load_dword v32, v4, s[12:15], 0 offen               // 000000002C38: E0501000 80032004
	v_add_u32_e32 v4, 64, v4                                   // 000000002C40: 680808C0
	s_mul_i32 s60, 4, s7                                       // 000000002C44: 923C0784
	v_lshlrev_b32_e32 v4, 4, v0                                // 000000002C48: 24080084
	v_add_u32_e32 v4, s60, v4                                  // 000000002C4C: 6808083C
	buffer_load_dword v3, v4, s[12:15], 0 offen                // 000000002C50: E0501000 80030304
	v_mov_b32_e32 v52, 0                                       // 000000002C58: 7E680280
	v_mov_b32_e32 v116, 0                                      // 000000002C5C: 7EE80280
	v_mov_b32_e32 v53, 0                                       // 000000002C60: 7E6A0280
	v_mov_b32_e32 v117, 0                                      // 000000002C64: 7EEA0280
	v_mov_b32_e32 v54, 0                                       // 000000002C68: 7E6C0280
	v_mov_b32_e32 v118, 0                                      // 000000002C6C: 7EEC0280
	v_mov_b32_e32 v55, 0                                       // 000000002C70: 7E6E0280
	v_mov_b32_e32 v119, 0                                      // 000000002C74: 7EEE0280
	v_mov_b32_e32 v56, 0                                       // 000000002C78: 7E700280
	v_mov_b32_e32 v120, 0                                      // 000000002C7C: 7EF00280
	v_mov_b32_e32 v57, 0                                       // 000000002C80: 7E720280
	v_mov_b32_e32 v121, 0                                      // 000000002C84: 7EF20280
	v_mov_b32_e32 v58, 0                                       // 000000002C88: 7E740280
	v_mov_b32_e32 v122, 0                                      // 000000002C8C: 7EF40280
	v_mov_b32_e32 v59, 0                                       // 000000002C90: 7E760280
	v_mov_b32_e32 v123, 0                                      // 000000002C94: 7EF60280
	v_mov_b32_e32 v60, 0                                       // 000000002C98: 7E780280
	v_mov_b32_e32 v124, 0                                      // 000000002C9C: 7EF80280
	v_mov_b32_e32 v61, 0                                       // 000000002CA0: 7E7A0280
	v_mov_b32_e32 v125, 0                                      // 000000002CA4: 7EFA0280
	v_mov_b32_e32 v62, 0                                       // 000000002CA8: 7E7C0280
	v_mov_b32_e32 v126, 0                                      // 000000002CAC: 7EFC0280
	v_mov_b32_e32 v63, 0                                       // 000000002CB0: 7E7E0280
	v_mov_b32_e32 v127, 0                                      // 000000002CB4: 7EFE0280
	v_mov_b32_e32 v64, 0                                       // 000000002CB8: 7E800280
	v_mov_b32_e32 v128, 0                                      // 000000002CBC: 7F000280
	v_mov_b32_e32 v65, 0                                       // 000000002CC0: 7E820280
	v_mov_b32_e32 v129, 0                                      // 000000002CC4: 7F020280
	v_mov_b32_e32 v66, 0                                       // 000000002CC8: 7E840280
	v_mov_b32_e32 v130, 0                                      // 000000002CCC: 7F040280
	v_mov_b32_e32 v67, 0                                       // 000000002CD0: 7E860280
	v_mov_b32_e32 v131, 0                                      // 000000002CD4: 7F060280
	v_mov_b32_e32 v68, 0                                       // 000000002CD8: 7E880280
	v_mov_b32_e32 v132, 0                                      // 000000002CDC: 7F080280
	v_mov_b32_e32 v69, 0                                       // 000000002CE0: 7E8A0280
	v_mov_b32_e32 v133, 0                                      // 000000002CE4: 7F0A0280
	v_mov_b32_e32 v70, 0                                       // 000000002CE8: 7E8C0280
	v_mov_b32_e32 v134, 0                                      // 000000002CEC: 7F0C0280
	v_mov_b32_e32 v71, 0                                       // 000000002CF0: 7E8E0280
	v_mov_b32_e32 v135, 0                                      // 000000002CF4: 7F0E0280
	v_mov_b32_e32 v72, 0                                       // 000000002CF8: 7E900280
	v_mov_b32_e32 v136, 0                                      // 000000002CFC: 7F100280
	v_mov_b32_e32 v73, 0                                       // 000000002D00: 7E920280
	v_mov_b32_e32 v137, 0                                      // 000000002D04: 7F120280
	v_mov_b32_e32 v74, 0                                       // 000000002D08: 7E940280
	v_mov_b32_e32 v138, 0                                      // 000000002D0C: 7F140280
	v_mov_b32_e32 v75, 0                                       // 000000002D10: 7E960280
	v_mov_b32_e32 v139, 0                                      // 000000002D14: 7F160280
	v_mov_b32_e32 v76, 0                                       // 000000002D18: 7E980280
	v_mov_b32_e32 v140, 0                                      // 000000002D1C: 7F180280
	v_mov_b32_e32 v77, 0                                       // 000000002D20: 7E9A0280
	v_mov_b32_e32 v141, 0                                      // 000000002D24: 7F1A0280
	v_mov_b32_e32 v78, 0                                       // 000000002D28: 7E9C0280
	v_mov_b32_e32 v142, 0                                      // 000000002D2C: 7F1C0280
	v_mov_b32_e32 v79, 0                                       // 000000002D30: 7E9E0280
	v_mov_b32_e32 v143, 0                                      // 000000002D34: 7F1E0280
	v_mov_b32_e32 v80, 0                                       // 000000002D38: 7EA00280
	v_mov_b32_e32 v144, 0                                      // 000000002D3C: 7F200280
	v_mov_b32_e32 v81, 0                                       // 000000002D40: 7EA20280
	v_mov_b32_e32 v145, 0                                      // 000000002D44: 7F220280
	v_mov_b32_e32 v82, 0                                       // 000000002D48: 7EA40280
	v_mov_b32_e32 v146, 0                                      // 000000002D4C: 7F240280
	v_mov_b32_e32 v83, 0                                       // 000000002D50: 7EA60280
	v_mov_b32_e32 v147, 0                                      // 000000002D54: 7F260280
	v_mov_b32_e32 v84, 0                                       // 000000002D58: 7EA80280
	v_mov_b32_e32 v148, 0                                      // 000000002D5C: 7F280280
	v_mov_b32_e32 v85, 0                                       // 000000002D60: 7EAA0280
	v_mov_b32_e32 v149, 0                                      // 000000002D64: 7F2A0280
	v_mov_b32_e32 v86, 0                                       // 000000002D68: 7EAC0280
	v_mov_b32_e32 v150, 0                                      // 000000002D6C: 7F2C0280
	v_mov_b32_e32 v87, 0                                       // 000000002D70: 7EAE0280
	v_mov_b32_e32 v151, 0                                      // 000000002D74: 7F2E0280
	v_mov_b32_e32 v88, 0                                       // 000000002D78: 7EB00280
	v_mov_b32_e32 v152, 0                                      // 000000002D7C: 7F300280
	v_mov_b32_e32 v89, 0                                       // 000000002D80: 7EB20280
	v_mov_b32_e32 v153, 0                                      // 000000002D84: 7F320280
	v_mov_b32_e32 v90, 0                                       // 000000002D88: 7EB40280
	v_mov_b32_e32 v154, 0                                      // 000000002D8C: 7F340280
	v_mov_b32_e32 v91, 0                                       // 000000002D90: 7EB60280
	v_mov_b32_e32 v155, 0                                      // 000000002D94: 7F360280
	v_mov_b32_e32 v92, 0                                       // 000000002D98: 7EB80280
	v_mov_b32_e32 v156, 0                                      // 000000002D9C: 7F380280
	v_mov_b32_e32 v93, 0                                       // 000000002DA0: 7EBA0280
	v_mov_b32_e32 v157, 0                                      // 000000002DA4: 7F3A0280
	v_mov_b32_e32 v94, 0                                       // 000000002DA8: 7EBC0280
	v_mov_b32_e32 v158, 0                                      // 000000002DAC: 7F3C0280
	v_mov_b32_e32 v95, 0                                       // 000000002DB0: 7EBE0280
	v_mov_b32_e32 v159, 0                                      // 000000002DB4: 7F3E0280
	v_mov_b32_e32 v96, 0                                       // 000000002DB8: 7EC00280
	v_mov_b32_e32 v160, 0                                      // 000000002DBC: 7F400280
	v_mov_b32_e32 v97, 0                                       // 000000002DC0: 7EC20280
	v_mov_b32_e32 v161, 0                                      // 000000002DC4: 7F420280
	v_mov_b32_e32 v98, 0                                       // 000000002DC8: 7EC40280
	v_mov_b32_e32 v162, 0                                      // 000000002DCC: 7F440280
	v_mov_b32_e32 v99, 0                                       // 000000002DD0: 7EC60280
	v_mov_b32_e32 v163, 0                                      // 000000002DD4: 7F460280
	v_mov_b32_e32 v100, 0                                      // 000000002DD8: 7EC80280
	v_mov_b32_e32 v164, 0                                      // 000000002DDC: 7F480280
	v_mov_b32_e32 v101, 0                                      // 000000002DE0: 7ECA0280
	v_mov_b32_e32 v165, 0                                      // 000000002DE4: 7F4A0280
	v_mov_b32_e32 v102, 0                                      // 000000002DE8: 7ECC0280
	v_mov_b32_e32 v166, 0                                      // 000000002DEC: 7F4C0280
	v_mov_b32_e32 v103, 0                                      // 000000002DF0: 7ECE0280
	v_mov_b32_e32 v167, 0                                      // 000000002DF4: 7F4E0280
	v_mov_b32_e32 v104, 0                                      // 000000002DF8: 7ED00280
	v_mov_b32_e32 v168, 0                                      // 000000002DFC: 7F500280
	v_mov_b32_e32 v105, 0                                      // 000000002E00: 7ED20280
	v_mov_b32_e32 v169, 0                                      // 000000002E04: 7F520280
	v_mov_b32_e32 v106, 0                                      // 000000002E08: 7ED40280
	v_mov_b32_e32 v170, 0                                      // 000000002E0C: 7F540280
	v_mov_b32_e32 v107, 0                                      // 000000002E10: 7ED60280
	v_mov_b32_e32 v171, 0                                      // 000000002E14: 7F560280
	v_mov_b32_e32 v108, 0                                      // 000000002E18: 7ED80280
	v_mov_b32_e32 v172, 0                                      // 000000002E1C: 7F580280
	v_mov_b32_e32 v109, 0                                      // 000000002E20: 7EDA0280
	v_mov_b32_e32 v173, 0                                      // 000000002E24: 7F5A0280
	v_mov_b32_e32 v110, 0                                      // 000000002E28: 7EDC0280
	v_mov_b32_e32 v174, 0                                      // 000000002E2C: 7F5C0280
	v_mov_b32_e32 v111, 0                                      // 000000002E30: 7EDE0280
	v_mov_b32_e32 v175, 0                                      // 000000002E34: 7F5E0280
	v_mov_b32_e32 v112, 0                                      // 000000002E38: 7EE00280
	v_mov_b32_e32 v176, 0                                      // 000000002E3C: 7F600280
	v_mov_b32_e32 v113, 0                                      // 000000002E40: 7EE20280
	v_mov_b32_e32 v177, 0                                      // 000000002E44: 7F620280
	v_mov_b32_e32 v114, 0                                      // 000000002E48: 7EE40280
	v_mov_b32_e32 v178, 0                                      // 000000002E4C: 7F640280
	v_mov_b32_e32 v115, 0                                      // 000000002E50: 7EE60280
	v_mov_b32_e32 v179, 0                                      // 000000002E54: 7F660280
	s_mul_i32 s60, s2, 0x400                                   // 000000002E58: 923CFF02 00000400
	s_cmp_eq_u32 s88, 0                                        // 000000002E60: BF068058
	s_cselect_b32 s61, 1, 2                                    // 000000002E64: 853D8281
	s_mul_i32 s60, s60, s61                                    // 000000002E68: 923C3D3C
	s_mov_b32 s90, s8                                          // 000000002E6C: BEDA0008
	s_mov_b32 s91, s9                                          // 000000002E70: BEDB0009
	s_add_u32 s8, s60, s8                                      // 000000002E74: 8008083C
	s_addc_u32 s9, 0, s9                                       // 000000002E78: 82090980
	v_lshrrev_b32_e32 v4, 4, v0                                // 000000002E7C: 20080084
	v_mul_lo_u32 v20, 34, v4                                   // 000000002E80: D2850014 000208A2
	v_and_b32_e32 v4, 15, v0                                   // 000000002E88: 2608008F
	v_mul_lo_u32 v5, 2, v4                                     // 000000002E8C: D2850005 00020882
	v_add_u32_e32 v20, v5, v20                                 // 000000002E94: 68282905
	s_mul_i32 s60, s7, 0x88                                    // 000000002E98: 923CFF07 00000088
	v_add_u32_e32 v20, s60, v20                                // 000000002EA0: 6828283C
	v_lshlrev_b32_e32 v20, 2, v20                              // 000000002EA4: 24282882
	v_and_b32_e32 v4, 31, v0                                   // 000000002EA8: 2608009F
	v_lshrrev_b32_e32 v4, 1, v4                                // 000000002EAC: 20080881
	v_mul_lo_u32 v21, 34, v4                                   // 000000002EB0: D2850015 000208A2
	v_lshrrev_b32_e32 v4, 5, v0                                // 000000002EB8: 20080085
	v_mul_lo_u32 v4, 8, v4                                     // 000000002EBC: D2850004 00020888
	v_add_u32_e32 v21, v21, v4                                 // 000000002EC4: 682A0915
	v_and_b32_e32 v5, 1, v0                                    // 000000002EC8: 260A0081
	v_add_u32_e32 v21, v5, v21                                 // 000000002ECC: 682A2B05
	s_mul_i32 s60, s7, 2                                       // 000000002ED0: 923C8207
	v_add_u32_e32 v21, s60, v21                                // 000000002ED4: 682A2A3C
	v_lshlrev_b32_e32 v21, 2, v21                              // 000000002ED8: 242A2A82
	s_mul_i32 s60, s7, 0x420                                   // 000000002EDC: 923CFF07 00000420
	s_add_u32 s48, 0, s60                                      // 000000002EE4: 80303C80
	s_add_u32 s49, 0x1080, s48                                 // 000000002EE8: 803130FF 00001080
	s_add_u32 s50, 0x1080, s49                                 // 000000002EF0: 803231FF 00001080
	v_lshrrev_b32_e32 v4, 4, v0                                // 000000002EF8: 20080084
	v_lshlrev_b32_e32 v5, 2, v4                                // 000000002EFC: 240A0882
	v_and_b32_e32 v4, 15, v0                                   // 000000002F00: 2608008F
	v_lshrrev_b32_e32 v6, 2, v4                                // 000000002F04: 200C0882
	v_lshlrev_b32_e32 v6, 5, v6                                // 000000002F08: 240C0C85
	v_add_u32_e32 v5, v6, v5                                   // 000000002F0C: 680A0B06
	v_and_b32_e32 v4, 3, v0                                    // 000000002F10: 26080083
	v_mul_u32_u24_e32 v6, 0x108, v4                            // 000000002F14: 100C08FF 00000108
	v_add_u32_e32 v5, v6, v5                                   // 000000002F1C: 680A0B06
	v_lshlrev_b32_e32 v2, 2, v5                                // 000000002F20: 24040A82
	s_waitcnt lgkmcnt(0)                                       // 000000002F24: BF8CC07F
	s_mul_i32 s60, s2, 0x200                                   // 000000002F28: 923CFF02 00000200
	s_mul_i32 s60, s60, s69                                    // 000000002F30: 923C453C
	s_mul_i32 s61, s5, s72                                     // 000000002F34: 923D4805
	s_add_u32 s60, s61, s60                                    // 000000002F38: 803C3C3D
	s_add_u32 s24, s60, s24                                    // 000000002F3C: 8018183C
	s_addc_u32 s25, 0, s25                                     // 000000002F40: 82191980
	s_lshr_b32 s60, s64, s88                                   // 000000002F44: 8F3C5840
	s_mul_i32 s60, s4, s60                                     // 000000002F48: 923C3C04
	s_lshr_b32 s60, s60, 7                                     // 000000002F4C: 8F3C873C
	s_mul_i32 s60, s60, 0x800                                  // 000000002F50: 923CFF3C 00000800
	s_add_u32 s24, s60, s24                                    // 000000002F58: 8018183C
	s_addc_u32 s25, 0, s25                                     // 000000002F5C: 82191980
	s_lshr_b32 s60, s69, s88                                   // 000000002F60: 8F3C5845
	s_mul_i32 s60, s4, s60                                     // 000000002F64: 923C3C04
	s_add_u32 s20, s60, s20                                    // 000000002F68: 8014143C
	s_addc_u32 s21, 0, s21                                     // 000000002F6C: 82151580
	s_mul_i32 s60, s7, 16                                      // 000000002F70: 923C9007
	s_mul_i32 s60, s60, s69                                    // 000000002F74: 923C453C
	v_lshlrev_b32_e32 v43, 4, v0                               // 000000002F78: 24560084
	v_add_u32_e32 v43, s60, v43                                // 000000002F7C: 6856563C
	s_mul_i32 s60, 64, s69                                     // 000000002F80: 923C45C0
	v_add_u32_e32 v44, s60, v43                                // 000000002F84: 6858563C
	v_add_u32_e32 v45, s60, v44                                // 000000002F88: 685A583C
	v_add_u32_e32 v46, s60, v45                                // 000000002F8C: 685C5A3C
	v_add_u32_e32 v47, s60, v46                                // 000000002F90: 685E5C3C
	v_add_u32_e32 v48, s60, v47                                // 000000002F94: 68605E3C
	v_add_u32_e32 v49, s60, v48                                // 000000002F98: 6862603C
	v_add_u32_e32 v50, s60, v49                                // 000000002F9C: 6864623C
	s_mov_b32 s84, s24                                         // 000000002FA0: BED40018
	s_mov_b32 s85, s25                                         // 000000002FA4: BED50019
	s_mov_b32 s86, s26                                         // 000000002FA8: BED6001A
	s_mov_b32 s87, s27                                         // 000000002FAC: BED7001B
	s_mul_i32 s60, s69, s65                                    // 000000002FB0: 923C4145
	s_add_u32 s84, s60, s84                                    // 000000002FB4: 8054543C
	s_addc_u32 s85, 0, s85                                     // 000000002FB8: 82555580
	v_lshrrev_b32_e32 v4, 4, v0                                // 000000002FBC: 20080084
	v_lshlrev_b32_e32 v5, 2, v4                                // 000000002FC0: 240A0882
	v_and_b32_e32 v4, 15, v0                                   // 000000002FC4: 2608008F
	v_lshrrev_b32_e32 v6, 2, v4                                // 000000002FC8: 200C0882
	v_lshlrev_b32_e32 v6, 6, v6                                // 000000002FCC: 240C0C86
	v_add_u32_e32 v5, v6, v5                                   // 000000002FD0: 680A0B06
	v_and_b32_e32 v4, 3, v0                                    // 000000002FD4: 26080083
	v_add_u32_e32 v5, v4, v5                                   // 000000002FD8: 680A0B04
	v_lshlrev_b32_e32 v22, 2, v5                               // 000000002FDC: 242C0A82
	v_add_u32_e32 v23, 0x400, v22                              // 000000002FE0: 682E2CFF 00000400
	s_mul_i32 s60, s7, 16                                      // 000000002FE8: 923C9007
	s_mul_i32 s60, s60, 4                                      // 000000002FEC: 923C843C
	v_add_u32_e32 v22, s60, v22                                // 000000002FF0: 682C2C3C
	v_add_u32_e32 v23, s60, v23                                // 000000002FF4: 682E2E3C
	s_mul_i32 s60, s2, 0x200                                   // 000000002FF8: 923CFF02 00000200
	s_mul_i32 s60, s60, 4                                      // 000000003000: 923C843C
	s_mul_i32 s61, s5, s74                                     // 000000003004: 923D4A05
	s_add_u32 s61, s61, s60                                    // 000000003008: 803D3C3D
	s_add_u32 s32, s61, s32                                    // 00000000300C: 8020203D
	s_addc_u32 s33, 0, s33                                     // 000000003010: 82212180
	s_mov_b32 s57, 0x80                                        // 000000003014: BEB900FF 00000080
	s_mov_b32 s58, 0x800                                       // 00000000301C: BEBA00FF 00000800
	s_mov_b32 s83, s58                                         // 000000003024: BED3003A
	s_mov_b32 s52, 0x7060302                                   // 000000003028: BEB400FF 07060302
	s_mov_b32 s53, 0x400                                       // 000000003030: BEB500FF 00000400
	s_mov_b32 s54, 0x40100                                     // 000000003038: BEB600FF 00040100
	s_mov_b32 s55, 0x4020100                                   // 000000003040: BEB700FF 04020100
	s_mov_b32 s6, 0x3fb8aa3b                                   // 000000003048: BE8600FF 3FB8AA3B
	s_mov_b32 s78, 0xbd92220c                                  // 000000003050: BECE00FF BD92220C
	s_mov_b32 s79, 0xbd92220c                                  // 000000003058: BECF00FF BD92220C
	s_mov_b32 m0, s48                                          // 000000003060: BEFC0030
	v_mov_b32_e32 v1, 0xbfcc4231                               // 000000003064: 7E0202FF BFCC4231
	v_mov_b32_e32 v17, 0xffff0000                              // 00000000306C: 7E2202FF FFFF0000
	v_mov_b32_e32 v18, 0x7fff0000                              // 000000003074: 7E2402FF 7FFF0000
	v_mov_b32_e32 v19, 0x7fff                                  // 00000000307C: 7E2602FF 00007FFF
	s_waitcnt vmcnt(0) expcnt(0) lgkmcnt(0)                    // 000000003084: BF8C0000
	v_lshrrev_b32_e32 v4, 5, v0                                // 000000003088: 20080085
	v_xor_b32_e32 v5, 1, v4                                    // 00000000308C: 2A0A0881
	v_readlane_b32 s82, v3, 0                                  // 000000003090: D2890052 00010103
	s_and_b32 s82, s82, 0xffffff                               // 000000003098: 8652FF52 00FFFFFF
	v_mul_lo_u32 v6, v5, s82                                   // 0000000030A0: D2850006 0000A505
	v_readlane_b32 s82, v3, 1                                  // 0000000030A8: D2890052 00010303
	s_and_b32 s82, s82, 0xffffff                               // 0000000030B0: 8652FF52 00FFFFFF
	v_mul_lo_u32 v7, v4, s82                                   // 0000000030B8: D2850007 0000A504
	v_add_u32_e32 v39, v6, v7                                  // 0000000030C0: 684E0F06
	v_mul_lo_u32 v39, v39, s68                                 // 0000000030C4: D2850027 00008927
	v_readlane_b32 s82, v3, 2                                  // 0000000030CC: D2890052 00010503
	s_and_b32 s82, s82, 0xffffff                               // 0000000030D4: 8652FF52 00FFFFFF
	v_mul_lo_u32 v6, v5, s82                                   // 0000000030DC: D2850006 0000A505
	v_readlane_b32 s82, v3, 3                                  // 0000000030E4: D2890052 00010703
	s_and_b32 s82, s82, 0xffffff                               // 0000000030EC: 8652FF52 00FFFFFF
	v_mul_lo_u32 v7, v4, s82                                   // 0000000030F4: D2850007 0000A504
	v_add_u32_e32 v40, v6, v7                                  // 0000000030FC: 68500F06
	v_mul_lo_u32 v40, v40, s68                                 // 000000003100: D2850028 00008928
	v_readlane_b32 s82, v3, 4                                  // 000000003108: D2890052 00010903
	s_and_b32 s82, s82, 0xffffff                               // 000000003110: 8652FF52 00FFFFFF
	v_mul_lo_u32 v6, v5, s82                                   // 000000003118: D2850006 0000A505
	v_readlane_b32 s82, v3, 5                                  // 000000003120: D2890052 00010B03
	s_and_b32 s82, s82, 0xffffff                               // 000000003128: 8652FF52 00FFFFFF
	v_mul_lo_u32 v7, v4, s82                                   // 000000003130: D2850007 0000A504
	v_add_u32_e32 v41, v6, v7                                  // 000000003138: 68520F06
	v_mul_lo_u32 v41, v41, s68                                 // 00000000313C: D2850029 00008929
	v_readlane_b32 s82, v3, 6                                  // 000000003144: D2890052 00010D03
	s_and_b32 s82, s82, 0xffffff                               // 00000000314C: 8652FF52 00FFFFFF
	v_mul_lo_u32 v6, v5, s82                                   // 000000003154: D2850006 0000A505
	v_readlane_b32 s82, v3, 7                                  // 00000000315C: D2890052 00010F03
	s_and_b32 s82, s82, 0xffffff                               // 000000003164: 8652FF52 00FFFFFF
	v_mul_lo_u32 v7, v4, s82                                   // 00000000316C: D2850007 0000A504
	v_add_u32_e32 v42, v6, v7                                  // 000000003174: 68540F06
	v_mul_lo_u32 v42, v42, s68                                 // 000000003178: D285002A 0000892A
	v_and_b32_e32 v4, 31, v0                                   // 000000003180: 2608009F
	v_lshlrev_b32_e32 v4, 2, v4                                // 000000003184: 24080882
	v_add_u32_e32 v39, v39, v4                                 // 000000003188: 684E0927
	v_add_u32_e32 v40, v40, v4                                 // 00000000318C: 68500928
	v_add_u32_e32 v41, v41, v4                                 // 000000003190: 68520929
	v_add_u32_e32 v42, v42, v4                                 // 000000003194: 6854092A
	v_and_b32_e32 v31, 0xffffff, v31                           // 000000003198: 263E3EFF 00FFFFFF
	v_lshlrev_b32_e32 v31, 2, v31                              // 0000000031A0: 243E3E82
	v_and_b32_e32 v32, 0xffffff, v32                           // 0000000031A4: 264040FF 00FFFFFF
	v_lshlrev_b32_e32 v32, 2, v32                              // 0000000031AC: 24404082
	s_lshl_b32 s3, s66, 2                                      // 0000000031B0: 8E038242
	buffer_load_dword v33, v31, s[28:31], 0 offen              // 0000000031B4: E0501000 8007211F
	buffer_load_dword v34, v32, s[28:31], 0 offen              // 0000000031BC: E0501000 80072220
	buffer_load_dword v25, v22, s[32:35], 0 offen              // 0000000031C4: E0501000 80081916
	buffer_load_dword v26, v23, s[32:35], 0 offen              // 0000000031CC: E0501000 80081A17
	s_mul_i32 s60, 4, s65                                      // 0000000031D4: 923C4184
	s_add_u32 s32, s60, s32                                    // 0000000031D8: 8020203C
	s_addc_u32 s33, 0, s33                                     // 0000000031DC: 82212180
	buffer_load_dword v28, v22, s[32:35], 0 offen              // 0000000031E0: E0501000 80081C16
	buffer_load_dword v29, v23, s[32:35], 0 offen              // 0000000031E8: E0501000 80081D17
	buffer_load_dword v39, s[20:23], 0 offen lds               // 0000000031F0: E0511000 80050027
	s_add_u32 m0, 0x100, s48                                   // 0000000031F8: 807C30FF 00000100
	buffer_load_dword v40, s[20:23], 0 offen lds               // 000000003200: E0511000 80050028
	s_add_u32 m0, 0x200, s48                                   // 000000003208: 807C30FF 00000200
	buffer_load_dword v41, s[20:23], 0 offen lds               // 000000003210: E0511000 80050029
	s_add_u32 m0, 0x300, s48                                   // 000000003218: 807C30FF 00000300
	buffer_load_dword v42, s[20:23], 0 offen lds               // 000000003220: E0511000 8005002A
	s_add_u32 m0, 0, s49                                       // 000000003228: 807C3180
	s_add_u32 s20, s57, s20                                    // 00000000322C: 80141439
	s_addc_u32 s21, 0, s21                                     // 000000003230: 82151580
	buffer_load_dwordx4 a[32:35], v43, s[24:27], 0 offen       // 000000003234: E05C1000 8086202B
	buffer_load_dwordx4 a[36:39], v43, s[24:27], 0 offen offset:1024// 00000000323C: E05C1400 8086242B
	buffer_load_dwordx4 a[40:43], v44, s[24:27], 0 offen       // 000000003244: E05C1000 8086282C
	buffer_load_dwordx4 a[44:47], v44, s[24:27], 0 offen offset:1024// 00000000324C: E05C1400 80862C2C
	buffer_load_dwordx4 a[48:51], v45, s[24:27], 0 offen       // 000000003254: E05C1000 8086302D
	buffer_load_dwordx4 a[52:55], v45, s[24:27], 0 offen offset:1024// 00000000325C: E05C1400 8086342D
	buffer_load_dwordx4 a[56:59], v46, s[24:27], 0 offen       // 000000003264: E05C1000 8086382E
	buffer_load_dwordx4 a[60:63], v46, s[24:27], 0 offen offset:1024// 00000000326C: E05C1400 80863C2E
	buffer_load_dwordx4 a[64:67], v47, s[24:27], 0 offen       // 000000003274: E05C1000 8086402F
	buffer_load_dwordx4 a[68:71], v47, s[24:27], 0 offen offset:1024// 00000000327C: E05C1400 8086442F
	buffer_load_dwordx4 a[72:75], v48, s[24:27], 0 offen       // 000000003284: E05C1000 80864830
	buffer_load_dwordx4 a[76:79], v48, s[24:27], 0 offen offset:1024// 00000000328C: E05C1400 80864C30
	buffer_load_dwordx4 a[80:83], v49, s[24:27], 0 offen       // 000000003294: E05C1000 80865031
	buffer_load_dwordx4 a[84:87], v49, s[24:27], 0 offen offset:1024// 00000000329C: E05C1400 80865431
	buffer_load_dwordx4 a[88:91], v50, s[24:27], 0 offen       // 0000000032A4: E05C1000 80865832
	buffer_load_dwordx4 a[92:95], v50, s[24:27], 0 offen offset:1024// 0000000032AC: E05C1400 80865C32
	s_add_u32 s24, s58, s24                                    // 0000000032B4: 8018183A
	s_addc_u32 s25, 0, s25                                     // 0000000032B8: 82191980
	buffer_load_dword v39, s[20:23], 0 offen lds               // 0000000032BC: E0511000 80050027
	s_add_u32 m0, 0x100, s49                                   // 0000000032C4: 807C31FF 00000100
	buffer_load_dword v40, s[20:23], 0 offen lds               // 0000000032CC: E0511000 80050028
	s_add_u32 m0, 0x200, s49                                   // 0000000032D4: 807C31FF 00000200
	buffer_load_dword v41, s[20:23], 0 offen lds               // 0000000032DC: E0511000 80050029
	s_add_u32 m0, 0x300, s49                                   // 0000000032E4: 807C31FF 00000300
	buffer_load_dword v42, s[20:23], 0 offen lds               // 0000000032EC: E0511000 8005002A
	s_add_u32 m0, 0, s50                                       // 0000000032F4: 807C3280
	s_add_u32 s20, s57, s20                                    // 0000000032F8: 80141439
	s_addc_u32 s21, 0, s21                                     // 0000000032FC: 82151580
	buffer_load_dwordx4 a[96:99], v43, s[84:87], 0 offen       // 000000003300: E05C1000 8095602B
	buffer_load_dwordx4 a[100:103], v43, s[84:87], 0 offen offset:1024// 000000003308: E05C1400 8095642B
	buffer_load_dwordx4 a[104:107], v44, s[84:87], 0 offen     // 000000003310: E05C1000 8095682C
	buffer_load_dwordx4 a[108:111], v44, s[84:87], 0 offen offset:1024// 000000003318: E05C1400 80956C2C
	buffer_load_dwordx4 a[112:115], v45, s[84:87], 0 offen     // 000000003320: E05C1000 8095702D
	buffer_load_dwordx4 a[116:119], v45, s[84:87], 0 offen offset:1024// 000000003328: E05C1400 8095742D
	buffer_load_dwordx4 a[120:123], v46, s[84:87], 0 offen     // 000000003330: E05C1000 8095782E
	buffer_load_dwordx4 a[124:127], v46, s[84:87], 0 offen offset:1024// 000000003338: E05C1400 80957C2E
	buffer_load_dwordx4 a[128:131], v47, s[84:87], 0 offen     // 000000003340: E05C1000 8095802F
	buffer_load_dwordx4 a[132:135], v47, s[84:87], 0 offen offset:1024// 000000003348: E05C1400 8095842F
	buffer_load_dwordx4 a[136:139], v48, s[84:87], 0 offen     // 000000003350: E05C1000 80958830
	buffer_load_dwordx4 a[140:143], v48, s[84:87], 0 offen offset:1024// 000000003358: E05C1400 80958C30
	buffer_load_dwordx4 a[144:147], v49, s[84:87], 0 offen     // 000000003360: E05C1000 80959031
	buffer_load_dwordx4 a[148:151], v49, s[84:87], 0 offen offset:1024// 000000003368: E05C1400 80959431
	buffer_load_dwordx4 a[152:155], v50, s[84:87], 0 offen     // 000000003370: E05C1000 80959832
	buffer_load_dwordx4 a[156:159], v50, s[84:87], 0 offen offset:1024// 000000003378: E05C1400 80959C32
	s_add_u32 s84, s83, s84                                    // 000000003380: 80545453
	s_addc_u32 s85, 0, s85                                     // 000000003384: 82555580
	s_waitcnt vmcnt(36)                                        // 000000003388: BF8C8F74
	s_barrier                                                  // 00000000338C: BF8A0000
	ds_read_b128 a[0:3], v2                                    // 000000003390: DBFE0000 00000002
	ds_read_b128 a[4:7], v2 offset:64                          // 000000003398: DBFE0040 04000002
	ds_read_b128 a[8:11], v2 offset:512                        // 0000000033A0: DBFE0200 08000002
	ds_read_b128 a[12:15], v2 offset:576                       // 0000000033A8: DBFE0240 0C000002
	s_cmp_lt_i32 s7, 2                                         // 0000000033B0: BF048207
	s_cbranch_scc0 label_18AD                                  // 0000000033B4: BF84163C

00000000000033b8 <label_026E>:
	s_waitcnt vmcnt(20) lgkmcnt(0)                             // 0000000033B8: BF8C4074
	v_mfma_i32_16x16x32_i8 v[52:55], a[32:33], a[0:1], v[52:55]// 0000000033BC: D3D70034 1CD20120
	v_mfma_i32_16x16x32_i8 v[52:55], a[34:35], a[2:3], v[52:55]// 0000000033C4: D3D70034 1CD20522
	buffer_load_dwordx4 a[160:163], v43, s[24:27], 0 offen     // 0000000033CC: E05C1000 8086A02B
	v_mfma_i32_16x16x32_i8 v[52:55], a[36:37], a[4:5], v[52:55]// 0000000033D4: D3D70034 1CD20924
	v_mfma_i32_16x16x32_i8 v[52:55], a[38:39], a[6:7], v[52:55]// 0000000033DC: D3D70034 1CD20D26
	v_mfma_i32_16x16x32_i8 v[60:63], a[40:41], a[0:1], v[60:63]// 0000000033E4: D3D7003C 1CF20128
	v_mfma_i32_16x16x32_i8 v[60:63], a[42:43], a[2:3], v[60:63]// 0000000033EC: D3D7003C 1CF2052A
	buffer_load_dwordx4 a[164:167], v43, s[24:27], 0 offen offset:1024// 0000000033F4: E05C1400 8086A42B
	v_mfma_i32_16x16x32_i8 v[60:63], a[44:45], a[4:5], v[60:63]// 0000000033FC: D3D7003C 1CF2092C
	v_mfma_i32_16x16x32_i8 v[60:63], a[46:47], a[6:7], v[60:63]// 000000003404: D3D7003C 1CF20D2E
	v_mfma_i32_16x16x32_i8 v[68:71], a[48:49], a[0:1], v[68:71]// 00000000340C: D3D70044 1D120130
	v_mfma_i32_16x16x32_i8 v[68:71], a[50:51], a[2:3], v[68:71]// 000000003414: D3D70044 1D120532
	buffer_load_dwordx4 a[168:171], v44, s[24:27], 0 offen     // 00000000341C: E05C1000 8086A82C
	v_mfma_i32_16x16x32_i8 v[68:71], a[52:53], a[4:5], v[68:71]// 000000003424: D3D70044 1D120934
	v_mfma_i32_16x16x32_i8 v[68:71], a[54:55], a[6:7], v[68:71]// 00000000342C: D3D70044 1D120D36
	v_mfma_i32_16x16x32_i8 v[76:79], a[56:57], a[0:1], v[76:79]// 000000003434: D3D7004C 1D320138
	v_mfma_i32_16x16x32_i8 v[76:79], a[58:59], a[2:3], v[76:79]// 00000000343C: D3D7004C 1D32053A
	buffer_load_dwordx4 a[172:175], v44, s[24:27], 0 offen offset:1024// 000000003444: E05C1400 8086AC2C
	v_mfma_i32_16x16x32_i8 v[76:79], a[60:61], a[4:5], v[76:79]// 00000000344C: D3D7004C 1D32093C
	v_mfma_i32_16x16x32_i8 v[76:79], a[62:63], a[6:7], v[76:79]// 000000003454: D3D7004C 1D320D3E
	v_mfma_i32_16x16x32_i8 v[84:87], a[64:65], a[0:1], v[84:87]// 00000000345C: D3D70054 1D520140
	v_mfma_i32_16x16x32_i8 v[84:87], a[66:67], a[2:3], v[84:87]// 000000003464: D3D70054 1D520542
	buffer_load_dwordx4 a[176:179], v45, s[24:27], 0 offen     // 00000000346C: E05C1000 8086B02D
	v_mfma_i32_16x16x32_i8 v[84:87], a[68:69], a[4:5], v[84:87]// 000000003474: D3D70054 1D520944
	v_mfma_i32_16x16x32_i8 v[84:87], a[70:71], a[6:7], v[84:87]// 00000000347C: D3D70054 1D520D46
	v_mfma_i32_16x16x32_i8 v[92:95], a[72:73], a[0:1], v[92:95]// 000000003484: D3D7005C 1D720148
	v_mfma_i32_16x16x32_i8 v[92:95], a[74:75], a[2:3], v[92:95]// 00000000348C: D3D7005C 1D72054A
	buffer_load_dwordx4 a[180:183], v45, s[24:27], 0 offen offset:1024// 000000003494: E05C1400 8086B42D
	v_mfma_i32_16x16x32_i8 v[92:95], a[76:77], a[4:5], v[92:95]// 00000000349C: D3D7005C 1D72094C
	v_mfma_i32_16x16x32_i8 v[92:95], a[78:79], a[6:7], v[92:95]// 0000000034A4: D3D7005C 1D720D4E
	v_mfma_i32_16x16x32_i8 v[100:103], a[80:81], a[0:1], v[100:103]// 0000000034AC: D3D70064 1D920150
	v_mfma_i32_16x16x32_i8 v[100:103], a[82:83], a[2:3], v[100:103]// 0000000034B4: D3D70064 1D920552
	buffer_load_dwordx4 a[184:187], v46, s[24:27], 0 offen     // 0000000034BC: E05C1000 8086B82E
	v_mfma_i32_16x16x32_i8 v[100:103], a[84:85], a[4:5], v[100:103]// 0000000034C4: D3D70064 1D920954
	v_mfma_i32_16x16x32_i8 v[100:103], a[86:87], a[6:7], v[100:103]// 0000000034CC: D3D70064 1D920D56
	v_mfma_i32_16x16x32_i8 v[108:111], a[88:89], a[0:1], v[108:111]// 0000000034D4: D3D7006C 1DB20158
	v_mfma_i32_16x16x32_i8 v[108:111], a[90:91], a[2:3], v[108:111]// 0000000034DC: D3D7006C 1DB2055A
	buffer_load_dwordx4 a[188:191], v46, s[24:27], 0 offen offset:1024// 0000000034E4: E05C1400 8086BC2E
	v_mfma_i32_16x16x32_i8 v[108:111], a[92:93], a[4:5], v[108:111]// 0000000034EC: D3D7006C 1DB2095C
	v_mfma_i32_16x16x32_i8 v[108:111], a[94:95], a[6:7], v[108:111]// 0000000034F4: D3D7006C 1DB20D5E
	v_mfma_i32_16x16x32_i8 v[56:59], a[32:33], a[8:9], v[56:59]// 0000000034FC: D3D70038 1CE21120
	v_mfma_i32_16x16x32_i8 v[56:59], a[34:35], a[10:11], v[56:59]// 000000003504: D3D70038 1CE21522
	buffer_load_dwordx4 a[192:195], v47, s[24:27], 0 offen     // 00000000350C: E05C1000 8086C02F
	v_mfma_i32_16x16x32_i8 v[56:59], a[36:37], a[12:13], v[56:59]// 000000003514: D3D70038 1CE21924
	v_mfma_i32_16x16x32_i8 v[56:59], a[38:39], a[14:15], v[56:59]// 00000000351C: D3D70038 1CE21D26
	v_mfma_i32_16x16x32_i8 v[64:67], a[40:41], a[8:9], v[64:67]// 000000003524: D3D70040 1D021128
	v_mfma_i32_16x16x32_i8 v[64:67], a[42:43], a[10:11], v[64:67]// 00000000352C: D3D70040 1D02152A
	buffer_load_dwordx4 a[196:199], v47, s[24:27], 0 offen offset:1024// 000000003534: E05C1400 8086C42F
	v_mfma_i32_16x16x32_i8 v[64:67], a[44:45], a[12:13], v[64:67]// 00000000353C: D3D70040 1D02192C
	v_mfma_i32_16x16x32_i8 v[64:67], a[46:47], a[14:15], v[64:67]// 000000003544: D3D70040 1D021D2E
	v_mfma_i32_16x16x32_i8 v[72:75], a[48:49], a[8:9], v[72:75]// 00000000354C: D3D70048 1D221130
	v_mfma_i32_16x16x32_i8 v[72:75], a[50:51], a[10:11], v[72:75]// 000000003554: D3D70048 1D221532
	buffer_load_dwordx4 a[200:203], v48, s[24:27], 0 offen     // 00000000355C: E05C1000 8086C830
	v_mfma_i32_16x16x32_i8 v[72:75], a[52:53], a[12:13], v[72:75]// 000000003564: D3D70048 1D221934
	v_mfma_i32_16x16x32_i8 v[72:75], a[54:55], a[14:15], v[72:75]// 00000000356C: D3D70048 1D221D36
	v_mfma_i32_16x16x32_i8 v[80:83], a[56:57], a[8:9], v[80:83]// 000000003574: D3D70050 1D421138
	v_mfma_i32_16x16x32_i8 v[80:83], a[58:59], a[10:11], v[80:83]// 00000000357C: D3D70050 1D42153A
	buffer_load_dwordx4 a[204:207], v48, s[24:27], 0 offen offset:1024// 000000003584: E05C1400 8086CC30
	v_mfma_i32_16x16x32_i8 v[80:83], a[60:61], a[12:13], v[80:83]// 00000000358C: D3D70050 1D42193C
	v_mfma_i32_16x16x32_i8 v[80:83], a[62:63], a[14:15], v[80:83]// 000000003594: D3D70050 1D421D3E
	v_mfma_i32_16x16x32_i8 v[88:91], a[64:65], a[8:9], v[88:91]// 00000000359C: D3D70058 1D621140
	v_mfma_i32_16x16x32_i8 v[88:91], a[66:67], a[10:11], v[88:91]// 0000000035A4: D3D70058 1D621542
	buffer_load_dwordx4 a[208:211], v49, s[24:27], 0 offen     // 0000000035AC: E05C1000 8086D031
	v_mfma_i32_16x16x32_i8 v[88:91], a[68:69], a[12:13], v[88:91]// 0000000035B4: D3D70058 1D621944
	v_mfma_i32_16x16x32_i8 v[88:91], a[70:71], a[14:15], v[88:91]// 0000000035BC: D3D70058 1D621D46
	v_mfma_i32_16x16x32_i8 v[96:99], a[72:73], a[8:9], v[96:99]// 0000000035C4: D3D70060 1D821148
	v_mfma_i32_16x16x32_i8 v[96:99], a[74:75], a[10:11], v[96:99]// 0000000035CC: D3D70060 1D82154A
	buffer_load_dwordx4 a[212:215], v49, s[24:27], 0 offen offset:1024// 0000000035D4: E05C1400 8086D431
	v_mfma_i32_16x16x32_i8 v[96:99], a[76:77], a[12:13], v[96:99]// 0000000035DC: D3D70060 1D82194C
	v_mfma_i32_16x16x32_i8 v[96:99], a[78:79], a[14:15], v[96:99]// 0000000035E4: D3D70060 1D821D4E
	v_mfma_i32_16x16x32_i8 v[104:107], a[80:81], a[8:9], v[104:107]// 0000000035EC: D3D70068 1DA21150
	v_mfma_i32_16x16x32_i8 v[104:107], a[82:83], a[10:11], v[104:107]// 0000000035F4: D3D70068 1DA21552
	buffer_load_dwordx4 a[216:219], v50, s[24:27], 0 offen     // 0000000035FC: E05C1000 8086D832
	v_mfma_i32_16x16x32_i8 v[104:107], a[84:85], a[12:13], v[104:107]// 000000003604: D3D70068 1DA21954
	v_mfma_i32_16x16x32_i8 v[104:107], a[86:87], a[14:15], v[104:107]// 00000000360C: D3D70068 1DA21D56
	v_mfma_i32_16x16x32_i8 v[112:115], a[88:89], a[8:9], v[112:115]// 000000003614: D3D70070 1DC21158
	v_mfma_i32_16x16x32_i8 v[112:115], a[90:91], a[10:11], v[112:115]// 00000000361C: D3D70070 1DC2155A
	buffer_load_dwordx4 a[220:223], v50, s[24:27], 0 offen offset:1024// 000000003624: E05C1400 8086DC32
	buffer_load_dword v39, s[20:23], 0 offen lds               // 00000000362C: E0511000 80050027
	s_add_u32 m0, 0x100, s50                                   // 000000003634: 807C32FF 00000100
	v_mfma_i32_16x16x32_i8 v[112:115], a[92:93], a[12:13], v[112:115]// 00000000363C: D3D70070 1DC2195C
	v_mfma_i32_16x16x32_i8 v[112:115], a[94:95], a[14:15], v[112:115]// 000000003644: D3D70070 1DC21D5E
	buffer_load_dword v40, s[20:23], 0 offen lds               // 00000000364C: E0511000 80050028
	s_add_u32 m0, 0x200, s50                                   // 000000003654: 807C32FF 00000200
	buffer_load_dword v41, s[20:23], 0 offen lds               // 00000000365C: E0511000 80050029
	s_add_u32 m0, 0x300, s50                                   // 000000003664: 807C32FF 00000300
	buffer_load_dword v42, s[20:23], 0 offen lds               // 00000000366C: E0511000 8005002A
	s_add_u32 m0, 0, s48                                       // 000000003674: 807C3080
	s_waitcnt vmcnt(20)                                        // 000000003678: BF8C4F74
	s_barrier                                                  // 00000000367C: BF8A0000
	v_mfma_i32_16x16x32_i8 v[116:119], a[96:97], a[0:1], v[116:119]// 000000003680: D3D70074 1DD20160
	v_mfma_i32_16x16x32_i8 v[116:119], a[98:99], a[2:3], v[116:119]// 000000003688: D3D70074 1DD20562
	buffer_load_dwordx4 a[32:35], v43, s[84:87], 0 offen       // 000000003690: E05C1000 8095202B
	v_mfma_i32_16x16x32_i8 v[116:119], a[100:101], a[4:5], v[116:119]// 000000003698: D3D70074 1DD20964
	v_mfma_i32_16x16x32_i8 v[116:119], a[102:103], a[6:7], v[116:119]// 0000000036A0: D3D70074 1DD20D66
	ds_read_b128 a[16:19], v2 offset:4224                      // 0000000036A8: DBFE1080 10000002
	ds_read_b128 a[20:23], v2 offset:4288                      // 0000000036B0: DBFE10C0 14000002
	v_mfma_i32_16x16x32_i8 v[124:127], a[104:105], a[0:1], v[124:127]// 0000000036B8: D3D7007C 1DF20168
	v_mfma_i32_16x16x32_i8 v[124:127], a[106:107], a[2:3], v[124:127]// 0000000036C0: D3D7007C 1DF2056A
	buffer_load_dwordx4 a[36:39], v43, s[84:87], 0 offen offset:1024// 0000000036C8: E05C1400 8095242B
	v_mfma_i32_16x16x32_i8 v[124:127], a[108:109], a[4:5], v[124:127]// 0000000036D0: D3D7007C 1DF2096C
	v_mfma_i32_16x16x32_i8 v[124:127], a[110:111], a[6:7], v[124:127]// 0000000036D8: D3D7007C 1DF20D6E
	ds_read_b128 a[24:27], v2 offset:4736                      // 0000000036E0: DBFE1280 18000002
	ds_read_b128 a[28:31], v2 offset:4800                      // 0000000036E8: DBFE12C0 1C000002
	v_mfma_i32_16x16x32_i8 v[132:135], a[112:113], a[0:1], v[132:135]// 0000000036F0: D3D70084 1E120170
	v_mfma_i32_16x16x32_i8 v[132:135], a[114:115], a[2:3], v[132:135]// 0000000036F8: D3D70084 1E120572
	buffer_load_dwordx4 a[40:43], v44, s[84:87], 0 offen       // 000000003700: E05C1000 8095282C
	v_mfma_i32_16x16x32_i8 v[132:135], a[116:117], a[4:5], v[132:135]// 000000003708: D3D70084 1E120974
	v_mfma_i32_16x16x32_i8 v[132:135], a[118:119], a[6:7], v[132:135]// 000000003710: D3D70084 1E120D76
	v_mfma_i32_16x16x32_i8 v[140:143], a[120:121], a[0:1], v[140:143]// 000000003718: D3D7008C 1E320178
	v_mfma_i32_16x16x32_i8 v[140:143], a[122:123], a[2:3], v[140:143]// 000000003720: D3D7008C 1E32057A
	buffer_load_dwordx4 a[44:47], v44, s[84:87], 0 offen offset:1024// 000000003728: E05C1400 80952C2C
	v_mfma_i32_16x16x32_i8 v[140:143], a[124:125], a[4:5], v[140:143]// 000000003730: D3D7008C 1E32097C
	v_mfma_i32_16x16x32_i8 v[140:143], a[126:127], a[6:7], v[140:143]// 000000003738: D3D7008C 1E320D7E
	v_mfma_i32_16x16x32_i8 v[148:151], a[128:129], a[0:1], v[148:151]// 000000003740: D3D70094 1E520180
	v_mfma_i32_16x16x32_i8 v[148:151], a[130:131], a[2:3], v[148:151]// 000000003748: D3D70094 1E520582
	buffer_load_dwordx4 a[48:51], v45, s[84:87], 0 offen       // 000000003750: E05C1000 8095302D
	v_mfma_i32_16x16x32_i8 v[148:151], a[132:133], a[4:5], v[148:151]// 000000003758: D3D70094 1E520984
	v_mfma_i32_16x16x32_i8 v[148:151], a[134:135], a[6:7], v[148:151]// 000000003760: D3D70094 1E520D86
	v_mfma_i32_16x16x32_i8 v[156:159], a[136:137], a[0:1], v[156:159]// 000000003768: D3D7009C 1E720188
	v_mfma_i32_16x16x32_i8 v[156:159], a[138:139], a[2:3], v[156:159]// 000000003770: D3D7009C 1E72058A
	buffer_load_dwordx4 a[52:55], v45, s[84:87], 0 offen offset:1024// 000000003778: E05C1400 8095342D
	v_mfma_i32_16x16x32_i8 v[156:159], a[140:141], a[4:5], v[156:159]// 000000003780: D3D7009C 1E72098C
	v_mfma_i32_16x16x32_i8 v[156:159], a[142:143], a[6:7], v[156:159]// 000000003788: D3D7009C 1E720D8E
	v_mfma_i32_16x16x32_i8 v[164:167], a[144:145], a[0:1], v[164:167]// 000000003790: D3D700A4 1E920190
	v_mfma_i32_16x16x32_i8 v[164:167], a[146:147], a[2:3], v[164:167]// 000000003798: D3D700A4 1E920592
	buffer_load_dwordx4 a[56:59], v46, s[84:87], 0 offen       // 0000000037A0: E05C1000 8095382E
	v_mfma_i32_16x16x32_i8 v[164:167], a[148:149], a[4:5], v[164:167]// 0000000037A8: D3D700A4 1E920994
	v_mfma_i32_16x16x32_i8 v[164:167], a[150:151], a[6:7], v[164:167]// 0000000037B0: D3D700A4 1E920D96
	v_mfma_i32_16x16x32_i8 v[172:175], a[152:153], a[0:1], v[172:175]// 0000000037B8: D3D700AC 1EB20198
	v_mfma_i32_16x16x32_i8 v[172:175], a[154:155], a[2:3], v[172:175]// 0000000037C0: D3D700AC 1EB2059A
	buffer_load_dwordx4 a[60:63], v46, s[84:87], 0 offen offset:1024// 0000000037C8: E05C1400 80953C2E
	v_mfma_i32_16x16x32_i8 v[172:175], a[156:157], a[4:5], v[172:175]// 0000000037D0: D3D700AC 1EB2099C
	v_mfma_i32_16x16x32_i8 v[172:175], a[158:159], a[6:7], v[172:175]// 0000000037D8: D3D700AC 1EB20D9E
	v_mfma_i32_16x16x32_i8 v[120:123], a[96:97], a[8:9], v[120:123]// 0000000037E0: D3D70078 1DE21160
	v_mfma_i32_16x16x32_i8 v[120:123], a[98:99], a[10:11], v[120:123]// 0000000037E8: D3D70078 1DE21562
	buffer_load_dwordx4 a[64:67], v47, s[84:87], 0 offen       // 0000000037F0: E05C1000 8095402F
	v_mfma_i32_16x16x32_i8 v[120:123], a[100:101], a[12:13], v[120:123]// 0000000037F8: D3D70078 1DE21964
	v_mfma_i32_16x16x32_i8 v[120:123], a[102:103], a[14:15], v[120:123]// 000000003800: D3D70078 1DE21D66
	v_mfma_i32_16x16x32_i8 v[128:131], a[104:105], a[8:9], v[128:131]// 000000003808: D3D70080 1E021168
	v_mfma_i32_16x16x32_i8 v[128:131], a[106:107], a[10:11], v[128:131]// 000000003810: D3D70080 1E02156A
	buffer_load_dwordx4 a[68:71], v47, s[84:87], 0 offen offset:1024// 000000003818: E05C1400 8095442F
	v_mfma_i32_16x16x32_i8 v[128:131], a[108:109], a[12:13], v[128:131]// 000000003820: D3D70080 1E02196C
	v_mfma_i32_16x16x32_i8 v[128:131], a[110:111], a[14:15], v[128:131]// 000000003828: D3D70080 1E021D6E
	v_mfma_i32_16x16x32_i8 v[136:139], a[112:113], a[8:9], v[136:139]// 000000003830: D3D70088 1E221170
	v_mfma_i32_16x16x32_i8 v[136:139], a[114:115], a[10:11], v[136:139]// 000000003838: D3D70088 1E221572
	buffer_load_dwordx4 a[72:75], v48, s[84:87], 0 offen       // 000000003840: E05C1000 80954830
	v_mfma_i32_16x16x32_i8 v[136:139], a[116:117], a[12:13], v[136:139]// 000000003848: D3D70088 1E221974
	v_mfma_i32_16x16x32_i8 v[136:139], a[118:119], a[14:15], v[136:139]// 000000003850: D3D70088 1E221D76
	v_mfma_i32_16x16x32_i8 v[144:147], a[120:121], a[8:9], v[144:147]// 000000003858: D3D70090 1E421178
	v_mfma_i32_16x16x32_i8 v[144:147], a[122:123], a[10:11], v[144:147]// 000000003860: D3D70090 1E42157A
	buffer_load_dwordx4 a[76:79], v48, s[84:87], 0 offen offset:1024// 000000003868: E05C1400 80954C30
	v_mfma_i32_16x16x32_i8 v[144:147], a[124:125], a[12:13], v[144:147]// 000000003870: D3D70090 1E42197C
	v_mfma_i32_16x16x32_i8 v[144:147], a[126:127], a[14:15], v[144:147]// 000000003878: D3D70090 1E421D7E
	v_mfma_i32_16x16x32_i8 v[152:155], a[128:129], a[8:9], v[152:155]// 000000003880: D3D70098 1E621180
	v_mfma_i32_16x16x32_i8 v[152:155], a[130:131], a[10:11], v[152:155]// 000000003888: D3D70098 1E621582
	buffer_load_dwordx4 a[80:83], v49, s[84:87], 0 offen       // 000000003890: E05C1000 80955031
	v_mfma_i32_16x16x32_i8 v[152:155], a[132:133], a[12:13], v[152:155]// 000000003898: D3D70098 1E621984
	v_mfma_i32_16x16x32_i8 v[152:155], a[134:135], a[14:15], v[152:155]// 0000000038A0: D3D70098 1E621D86
	v_mfma_i32_16x16x32_i8 v[160:163], a[136:137], a[8:9], v[160:163]// 0000000038A8: D3D700A0 1E821188
	v_mfma_i32_16x16x32_i8 v[160:163], a[138:139], a[10:11], v[160:163]// 0000000038B0: D3D700A0 1E82158A
	buffer_load_dwordx4 a[84:87], v49, s[84:87], 0 offen offset:1024// 0000000038B8: E05C1400 80955431
	v_mfma_i32_16x16x32_i8 v[160:163], a[140:141], a[12:13], v[160:163]// 0000000038C0: D3D700A0 1E82198C
	v_mfma_i32_16x16x32_i8 v[160:163], a[142:143], a[14:15], v[160:163]// 0000000038C8: D3D700A0 1E821D8E
	v_mfma_i32_16x16x32_i8 v[168:171], a[144:145], a[8:9], v[168:171]// 0000000038D0: D3D700A8 1EA21190
	s_add_u32 s60, 0x180, s80                                  // 0000000038D8: 803C50FF 00000180
	s_cmp_lt_u32 s60, s81                                      // 0000000038E0: BF0A513C
	s_cselect_b32 s57, s57, 0                                  // 0000000038E4: 85398039
	v_mfma_i32_16x16x32_i8 v[168:171], a[146:147], a[10:11], v[168:171]// 0000000038E8: D3D700A8 1EA21592
	buffer_load_dwordx4 a[88:91], v50, s[84:87], 0 offen       // 0000000038F0: E05C1000 80955832
	s_add_u32 s60, 0x100, s80                                  // 0000000038F8: 803C50FF 00000100
	s_cmp_lt_u32 s60, s81                                      // 000000003900: BF0A513C
	s_cselect_b32 s58, s58, 0                                  // 000000003904: 853A803A
	v_mfma_i32_16x16x32_i8 v[168:171], a[148:149], a[12:13], v[168:171]// 000000003908: D3D700A8 1EA21994
	s_add_u32 s60, 0x100, s80                                  // 000000003910: 803C50FF 00000100
	s_cmp_lt_u32 s60, s81                                      // 000000003918: BF0A513C
	s_cselect_b32 s83, s83, 0                                  // 00000000391C: 85538053
	v_mfma_i32_16x16x32_i8 v[168:171], a[150:151], a[14:15], v[168:171]// 000000003920: D3D700A8 1EA21D96
	s_add_u32 s24, s58, s24                                    // 000000003928: 8018183A
	s_addc_u32 s25, 0, s25                                     // 00000000392C: 82191980
	v_mfma_i32_16x16x32_i8 v[176:179], a[152:153], a[8:9], v[176:179]// 000000003930: D3D700B0 1EC21198
	s_add_u32 s20, s57, s20                                    // 000000003938: 80141439
	s_addc_u32 s21, 0, s21                                     // 00000000393C: 82151580
	v_mfma_i32_16x16x32_i8 v[176:179], a[154:155], a[10:11], v[176:179]// 000000003940: D3D700B0 1EC2159A
	buffer_load_dwordx4 a[92:95], v50, s[84:87], 0 offen offset:1024// 000000003948: E05C1400 80955C32
	s_add_u32 s84, s83, s84                                    // 000000003950: 80545453
	s_addc_u32 s85, 0, s85                                     // 000000003954: 82555580
	v_mfma_i32_16x16x32_i8 v[176:179], a[156:157], a[12:13], v[176:179]// 000000003958: D3D700B0 1EC2199C
	v_mfma_i32_16x16x32_i8 v[176:179], a[158:159], a[14:15], v[176:179]// 000000003960: D3D700B0 1EC21D9E
	s_addk_i32 s80, 0x80                                       // 000000003968: B7500080
	s_cmp_lt_i32 s80, s81                                      // 00000000396C: BF045150
	s_cbranch_scc0 label_0B09                                  // 000000003970: BF84072C
	s_waitcnt vmcnt(20) lgkmcnt(0)                             // 000000003974: BF8C4074
	v_mfma_i32_16x16x32_i8 v[52:55], a[160:161], a[16:17], v[52:55]// 000000003978: D3D70034 1CD221A0
	v_mfma_i32_16x16x32_i8 v[52:55], a[162:163], a[18:19], v[52:55]// 000000003980: D3D70034 1CD225A2
	buffer_load_dwordx4 a[96:99], v43, s[24:27], 0 offen       // 000000003988: E05C1000 8086602B
	v_mfma_i32_16x16x32_i8 v[52:55], a[164:165], a[20:21], v[52:55]// 000000003990: D3D70034 1CD229A4
	v_mfma_i32_16x16x32_i8 v[52:55], a[166:167], a[22:23], v[52:55]// 000000003998: D3D70034 1CD22DA6
	v_mfma_i32_16x16x32_i8 v[60:63], a[168:169], a[16:17], v[60:63]// 0000000039A0: D3D7003C 1CF221A8
	v_mfma_i32_16x16x32_i8 v[60:63], a[170:171], a[18:19], v[60:63]// 0000000039A8: D3D7003C 1CF225AA
	buffer_load_dwordx4 a[100:103], v43, s[24:27], 0 offen offset:1024// 0000000039B0: E05C1400 8086642B
	v_mfma_i32_16x16x32_i8 v[60:63], a[172:173], a[20:21], v[60:63]// 0000000039B8: D3D7003C 1CF229AC
	v_mfma_i32_16x16x32_i8 v[60:63], a[174:175], a[22:23], v[60:63]// 0000000039C0: D3D7003C 1CF22DAE
	v_mfma_i32_16x16x32_i8 v[68:71], a[176:177], a[16:17], v[68:71]// 0000000039C8: D3D70044 1D1221B0
	v_mfma_i32_16x16x32_i8 v[68:71], a[178:179], a[18:19], v[68:71]// 0000000039D0: D3D70044 1D1225B2
	buffer_load_dwordx4 a[104:107], v44, s[24:27], 0 offen     // 0000000039D8: E05C1000 8086682C
	v_mfma_i32_16x16x32_i8 v[68:71], a[180:181], a[20:21], v[68:71]// 0000000039E0: D3D70044 1D1229B4
	v_mfma_i32_16x16x32_i8 v[68:71], a[182:183], a[22:23], v[68:71]// 0000000039E8: D3D70044 1D122DB6
	v_mfma_i32_16x16x32_i8 v[76:79], a[184:185], a[16:17], v[76:79]// 0000000039F0: D3D7004C 1D3221B8
	v_mfma_i32_16x16x32_i8 v[76:79], a[186:187], a[18:19], v[76:79]// 0000000039F8: D3D7004C 1D3225BA
	buffer_load_dwordx4 a[108:111], v44, s[24:27], 0 offen offset:1024// 000000003A00: E05C1400 80866C2C
	v_mfma_i32_16x16x32_i8 v[76:79], a[188:189], a[20:21], v[76:79]// 000000003A08: D3D7004C 1D3229BC
	v_mfma_i32_16x16x32_i8 v[76:79], a[190:191], a[22:23], v[76:79]// 000000003A10: D3D7004C 1D322DBE
	v_mfma_i32_16x16x32_i8 v[84:87], a[192:193], a[16:17], v[84:87]// 000000003A18: D3D70054 1D5221C0
	v_mfma_i32_16x16x32_i8 v[84:87], a[194:195], a[18:19], v[84:87]// 000000003A20: D3D70054 1D5225C2
	buffer_load_dwordx4 a[112:115], v45, s[24:27], 0 offen     // 000000003A28: E05C1000 8086702D
	v_mfma_i32_16x16x32_i8 v[84:87], a[196:197], a[20:21], v[84:87]// 000000003A30: D3D70054 1D5229C4
	v_mfma_i32_16x16x32_i8 v[84:87], a[198:199], a[22:23], v[84:87]// 000000003A38: D3D70054 1D522DC6
	v_mfma_i32_16x16x32_i8 v[92:95], a[200:201], a[16:17], v[92:95]// 000000003A40: D3D7005C 1D7221C8
	v_mfma_i32_16x16x32_i8 v[92:95], a[202:203], a[18:19], v[92:95]// 000000003A48: D3D7005C 1D7225CA
	buffer_load_dwordx4 a[116:119], v45, s[24:27], 0 offen offset:1024// 000000003A50: E05C1400 8086742D
	v_mfma_i32_16x16x32_i8 v[92:95], a[204:205], a[20:21], v[92:95]// 000000003A58: D3D7005C 1D7229CC
	v_mfma_i32_16x16x32_i8 v[92:95], a[206:207], a[22:23], v[92:95]// 000000003A60: D3D7005C 1D722DCE
	v_mfma_i32_16x16x32_i8 v[100:103], a[208:209], a[16:17], v[100:103]// 000000003A68: D3D70064 1D9221D0
	v_mfma_i32_16x16x32_i8 v[100:103], a[210:211], a[18:19], v[100:103]// 000000003A70: D3D70064 1D9225D2
	buffer_load_dwordx4 a[120:123], v46, s[24:27], 0 offen     // 000000003A78: E05C1000 8086782E
	v_mfma_i32_16x16x32_i8 v[100:103], a[212:213], a[20:21], v[100:103]// 000000003A80: D3D70064 1D9229D4
	v_mfma_i32_16x16x32_i8 v[100:103], a[214:215], a[22:23], v[100:103]// 000000003A88: D3D70064 1D922DD6
	v_mfma_i32_16x16x32_i8 v[108:111], a[216:217], a[16:17], v[108:111]// 000000003A90: D3D7006C 1DB221D8
	v_mfma_i32_16x16x32_i8 v[108:111], a[218:219], a[18:19], v[108:111]// 000000003A98: D3D7006C 1DB225DA
	buffer_load_dwordx4 a[124:127], v46, s[24:27], 0 offen offset:1024// 000000003AA0: E05C1400 80867C2E
	v_mfma_i32_16x16x32_i8 v[108:111], a[220:221], a[20:21], v[108:111]// 000000003AA8: D3D7006C 1DB229DC
	v_mfma_i32_16x16x32_i8 v[108:111], a[222:223], a[22:23], v[108:111]// 000000003AB0: D3D7006C 1DB22DDE
	v_mfma_i32_16x16x32_i8 v[56:59], a[160:161], a[24:25], v[56:59]// 000000003AB8: D3D70038 1CE231A0
	v_mfma_i32_16x16x32_i8 v[56:59], a[162:163], a[26:27], v[56:59]// 000000003AC0: D3D70038 1CE235A2
	buffer_load_dwordx4 a[128:131], v47, s[24:27], 0 offen     // 000000003AC8: E05C1000 8086802F
	v_mfma_i32_16x16x32_i8 v[56:59], a[164:165], a[28:29], v[56:59]// 000000003AD0: D3D70038 1CE239A4
	v_mfma_i32_16x16x32_i8 v[56:59], a[166:167], a[30:31], v[56:59]// 000000003AD8: D3D70038 1CE23DA6
	v_mfma_i32_16x16x32_i8 v[64:67], a[168:169], a[24:25], v[64:67]// 000000003AE0: D3D70040 1D0231A8
	v_mfma_i32_16x16x32_i8 v[64:67], a[170:171], a[26:27], v[64:67]// 000000003AE8: D3D70040 1D0235AA
	buffer_load_dwordx4 a[132:135], v47, s[24:27], 0 offen offset:1024// 000000003AF0: E05C1400 8086842F
	v_mfma_i32_16x16x32_i8 v[64:67], a[172:173], a[28:29], v[64:67]// 000000003AF8: D3D70040 1D0239AC
	v_mfma_i32_16x16x32_i8 v[64:67], a[174:175], a[30:31], v[64:67]// 000000003B00: D3D70040 1D023DAE
	v_mfma_i32_16x16x32_i8 v[72:75], a[176:177], a[24:25], v[72:75]// 000000003B08: D3D70048 1D2231B0
	v_mfma_i32_16x16x32_i8 v[72:75], a[178:179], a[26:27], v[72:75]// 000000003B10: D3D70048 1D2235B2
	buffer_load_dwordx4 a[136:139], v48, s[24:27], 0 offen     // 000000003B18: E05C1000 80868830
	v_mfma_i32_16x16x32_i8 v[72:75], a[180:181], a[28:29], v[72:75]// 000000003B20: D3D70048 1D2239B4
	v_mfma_i32_16x16x32_i8 v[72:75], a[182:183], a[30:31], v[72:75]// 000000003B28: D3D70048 1D223DB6
	v_mfma_i32_16x16x32_i8 v[80:83], a[184:185], a[24:25], v[80:83]// 000000003B30: D3D70050 1D4231B8
	v_mfma_i32_16x16x32_i8 v[80:83], a[186:187], a[26:27], v[80:83]// 000000003B38: D3D70050 1D4235BA
	buffer_load_dwordx4 a[140:143], v48, s[24:27], 0 offen offset:1024// 000000003B40: E05C1400 80868C30
	v_mfma_i32_16x16x32_i8 v[80:83], a[188:189], a[28:29], v[80:83]// 000000003B48: D3D70050 1D4239BC
	v_mfma_i32_16x16x32_i8 v[80:83], a[190:191], a[30:31], v[80:83]// 000000003B50: D3D70050 1D423DBE
	v_mfma_i32_16x16x32_i8 v[88:91], a[192:193], a[24:25], v[88:91]// 000000003B58: D3D70058 1D6231C0
	v_mfma_i32_16x16x32_i8 v[88:91], a[194:195], a[26:27], v[88:91]// 000000003B60: D3D70058 1D6235C2
	buffer_load_dwordx4 a[144:147], v49, s[24:27], 0 offen     // 000000003B68: E05C1000 80869031
	v_mfma_i32_16x16x32_i8 v[88:91], a[196:197], a[28:29], v[88:91]// 000000003B70: D3D70058 1D6239C4
	v_mfma_i32_16x16x32_i8 v[88:91], a[198:199], a[30:31], v[88:91]// 000000003B78: D3D70058 1D623DC6
	v_mfma_i32_16x16x32_i8 v[96:99], a[200:201], a[24:25], v[96:99]// 000000003B80: D3D70060 1D8231C8
	v_mfma_i32_16x16x32_i8 v[96:99], a[202:203], a[26:27], v[96:99]// 000000003B88: D3D70060 1D8235CA
	buffer_load_dwordx4 a[148:151], v49, s[24:27], 0 offen offset:1024// 000000003B90: E05C1400 80869431
	v_mfma_i32_16x16x32_i8 v[96:99], a[204:205], a[28:29], v[96:99]// 000000003B98: D3D70060 1D8239CC
	v_mfma_i32_16x16x32_i8 v[96:99], a[206:207], a[30:31], v[96:99]// 000000003BA0: D3D70060 1D823DCE
	v_mfma_i32_16x16x32_i8 v[104:107], a[208:209], a[24:25], v[104:107]// 000000003BA8: D3D70068 1DA231D0
	v_mfma_i32_16x16x32_i8 v[104:107], a[210:211], a[26:27], v[104:107]// 000000003BB0: D3D70068 1DA235D2
	buffer_load_dwordx4 a[152:155], v50, s[24:27], 0 offen     // 000000003BB8: E05C1000 80869832
	v_mfma_i32_16x16x32_i8 v[104:107], a[212:213], a[28:29], v[104:107]// 000000003BC0: D3D70068 1DA239D4
	v_mfma_i32_16x16x32_i8 v[104:107], a[214:215], a[30:31], v[104:107]// 000000003BC8: D3D70068 1DA23DD6
	v_mfma_i32_16x16x32_i8 v[112:115], a[216:217], a[24:25], v[112:115]// 000000003BD0: D3D70070 1DC231D8
	v_mfma_i32_16x16x32_i8 v[112:115], a[218:219], a[26:27], v[112:115]// 000000003BD8: D3D70070 1DC235DA
	buffer_load_dwordx4 a[156:159], v50, s[24:27], 0 offen offset:1024// 000000003BE0: E05C1400 80869C32
	buffer_load_dword v39, s[20:23], 0 offen lds               // 000000003BE8: E0511000 80050027
	s_add_u32 m0, 0x100, s48                                   // 000000003BF0: 807C30FF 00000100
	v_mfma_i32_16x16x32_i8 v[112:115], a[220:221], a[28:29], v[112:115]// 000000003BF8: D3D70070 1DC239DC
	v_mfma_i32_16x16x32_i8 v[112:115], a[222:223], a[30:31], v[112:115]// 000000003C00: D3D70070 1DC23DDE
	buffer_load_dword v40, s[20:23], 0 offen lds               // 000000003C08: E0511000 80050028
	s_add_u32 m0, 0x200, s48                                   // 000000003C10: 807C30FF 00000200
	buffer_load_dword v41, s[20:23], 0 offen lds               // 000000003C18: E0511000 80050029
	s_add_u32 m0, 0x300, s48                                   // 000000003C20: 807C30FF 00000300
	buffer_load_dword v42, s[20:23], 0 offen lds               // 000000003C28: E0511000 8005002A
	s_add_u32 m0, 0, s49                                       // 000000003C30: 807C3180
	s_waitcnt vmcnt(20)                                        // 000000003C34: BF8C4F74
	s_barrier                                                  // 000000003C38: BF8A0000
	v_mfma_i32_16x16x32_i8 v[116:119], a[32:33], a[16:17], v[116:119]// 000000003C3C: D3D70074 1DD22120
	v_mfma_i32_16x16x32_i8 v[116:119], a[34:35], a[18:19], v[116:119]// 000000003C44: D3D70074 1DD22522
	buffer_load_dwordx4 a[160:163], v43, s[84:87], 0 offen     // 000000003C4C: E05C1000 8095A02B
	v_mfma_i32_16x16x32_i8 v[116:119], a[36:37], a[20:21], v[116:119]// 000000003C54: D3D70074 1DD22924
	v_mfma_i32_16x16x32_i8 v[116:119], a[38:39], a[22:23], v[116:119]// 000000003C5C: D3D70074 1DD22D26
	ds_read_b128 a[0:3], v2 offset:8448                        // 000000003C64: DBFE2100 00000002
	ds_read_b128 a[4:7], v2 offset:8512                        // 000000003C6C: DBFE2140 04000002
	v_mfma_i32_16x16x32_i8 v[124:127], a[40:41], a[16:17], v[124:127]// 000000003C74: D3D7007C 1DF22128
	v_mfma_i32_16x16x32_i8 v[124:127], a[42:43], a[18:19], v[124:127]// 000000003C7C: D3D7007C 1DF2252A
	buffer_load_dwordx4 a[164:167], v43, s[84:87], 0 offen offset:1024// 000000003C84: E05C1400 8095A42B
	v_mfma_i32_16x16x32_i8 v[124:127], a[44:45], a[20:21], v[124:127]// 000000003C8C: D3D7007C 1DF2292C
	v_mfma_i32_16x16x32_i8 v[124:127], a[46:47], a[22:23], v[124:127]// 000000003C94: D3D7007C 1DF22D2E
	ds_read_b128 a[8:11], v2 offset:8960                       // 000000003C9C: DBFE2300 08000002
	ds_read_b128 a[12:15], v2 offset:9024                      // 000000003CA4: DBFE2340 0C000002
	v_mfma_i32_16x16x32_i8 v[132:135], a[48:49], a[16:17], v[132:135]// 000000003CAC: D3D70084 1E122130
	v_mfma_i32_16x16x32_i8 v[132:135], a[50:51], a[18:19], v[132:135]// 000000003CB4: D3D70084 1E122532
	buffer_load_dwordx4 a[168:171], v44, s[84:87], 0 offen     // 000000003CBC: E05C1000 8095A82C
	v_mfma_i32_16x16x32_i8 v[132:135], a[52:53], a[20:21], v[132:135]// 000000003CC4: D3D70084 1E122934
	v_mfma_i32_16x16x32_i8 v[132:135], a[54:55], a[22:23], v[132:135]// 000000003CCC: D3D70084 1E122D36
	v_mfma_i32_16x16x32_i8 v[140:143], a[56:57], a[16:17], v[140:143]// 000000003CD4: D3D7008C 1E322138
	v_mfma_i32_16x16x32_i8 v[140:143], a[58:59], a[18:19], v[140:143]// 000000003CDC: D3D7008C 1E32253A
	buffer_load_dwordx4 a[172:175], v44, s[84:87], 0 offen offset:1024// 000000003CE4: E05C1400 8095AC2C
	v_mfma_i32_16x16x32_i8 v[140:143], a[60:61], a[20:21], v[140:143]// 000000003CEC: D3D7008C 1E32293C
	v_mfma_i32_16x16x32_i8 v[140:143], a[62:63], a[22:23], v[140:143]// 000000003CF4: D3D7008C 1E322D3E
	v_mfma_i32_16x16x32_i8 v[148:151], a[64:65], a[16:17], v[148:151]// 000000003CFC: D3D70094 1E522140
	v_mfma_i32_16x16x32_i8 v[148:151], a[66:67], a[18:19], v[148:151]// 000000003D04: D3D70094 1E522542
	buffer_load_dwordx4 a[176:179], v45, s[84:87], 0 offen     // 000000003D0C: E05C1000 8095B02D
	v_mfma_i32_16x16x32_i8 v[148:151], a[68:69], a[20:21], v[148:151]// 000000003D14: D3D70094 1E522944
	v_mfma_i32_16x16x32_i8 v[148:151], a[70:71], a[22:23], v[148:151]// 000000003D1C: D3D70094 1E522D46
	v_mfma_i32_16x16x32_i8 v[156:159], a[72:73], a[16:17], v[156:159]// 000000003D24: D3D7009C 1E722148
	v_mfma_i32_16x16x32_i8 v[156:159], a[74:75], a[18:19], v[156:159]// 000000003D2C: D3D7009C 1E72254A
	buffer_load_dwordx4 a[180:183], v45, s[84:87], 0 offen offset:1024// 000000003D34: E05C1400 8095B42D
	v_mfma_i32_16x16x32_i8 v[156:159], a[76:77], a[20:21], v[156:159]// 000000003D3C: D3D7009C 1E72294C
	v_mfma_i32_16x16x32_i8 v[156:159], a[78:79], a[22:23], v[156:159]// 000000003D44: D3D7009C 1E722D4E
	v_mfma_i32_16x16x32_i8 v[164:167], a[80:81], a[16:17], v[164:167]// 000000003D4C: D3D700A4 1E922150
	v_mfma_i32_16x16x32_i8 v[164:167], a[82:83], a[18:19], v[164:167]// 000000003D54: D3D700A4 1E922552
	buffer_load_dwordx4 a[184:187], v46, s[84:87], 0 offen     // 000000003D5C: E05C1000 8095B82E
	v_mfma_i32_16x16x32_i8 v[164:167], a[84:85], a[20:21], v[164:167]// 000000003D64: D3D700A4 1E922954
	v_mfma_i32_16x16x32_i8 v[164:167], a[86:87], a[22:23], v[164:167]// 000000003D6C: D3D700A4 1E922D56
	v_mfma_i32_16x16x32_i8 v[172:175], a[88:89], a[16:17], v[172:175]// 000000003D74: D3D700AC 1EB22158
	v_mfma_i32_16x16x32_i8 v[172:175], a[90:91], a[18:19], v[172:175]// 000000003D7C: D3D700AC 1EB2255A
	buffer_load_dwordx4 a[188:191], v46, s[84:87], 0 offen offset:1024// 000000003D84: E05C1400 8095BC2E
	v_mfma_i32_16x16x32_i8 v[172:175], a[92:93], a[20:21], v[172:175]// 000000003D8C: D3D700AC 1EB2295C
	v_mfma_i32_16x16x32_i8 v[172:175], a[94:95], a[22:23], v[172:175]// 000000003D94: D3D700AC 1EB22D5E
	v_mfma_i32_16x16x32_i8 v[120:123], a[32:33], a[24:25], v[120:123]// 000000003D9C: D3D70078 1DE23120
	v_mfma_i32_16x16x32_i8 v[120:123], a[34:35], a[26:27], v[120:123]// 000000003DA4: D3D70078 1DE23522
	buffer_load_dwordx4 a[192:195], v47, s[84:87], 0 offen     // 000000003DAC: E05C1000 8095C02F
	v_mfma_i32_16x16x32_i8 v[120:123], a[36:37], a[28:29], v[120:123]// 000000003DB4: D3D70078 1DE23924
	v_mfma_i32_16x16x32_i8 v[120:123], a[38:39], a[30:31], v[120:123]// 000000003DBC: D3D70078 1DE23D26
	v_mfma_i32_16x16x32_i8 v[128:131], a[40:41], a[24:25], v[128:131]// 000000003DC4: D3D70080 1E023128
	v_mfma_i32_16x16x32_i8 v[128:131], a[42:43], a[26:27], v[128:131]// 000000003DCC: D3D70080 1E02352A
	buffer_load_dwordx4 a[196:199], v47, s[84:87], 0 offen offset:1024// 000000003DD4: E05C1400 8095C42F
	v_mfma_i32_16x16x32_i8 v[128:131], a[44:45], a[28:29], v[128:131]// 000000003DDC: D3D70080 1E02392C
	v_mfma_i32_16x16x32_i8 v[128:131], a[46:47], a[30:31], v[128:131]// 000000003DE4: D3D70080 1E023D2E
	v_mfma_i32_16x16x32_i8 v[136:139], a[48:49], a[24:25], v[136:139]// 000000003DEC: D3D70088 1E223130
	v_mfma_i32_16x16x32_i8 v[136:139], a[50:51], a[26:27], v[136:139]// 000000003DF4: D3D70088 1E223532
	buffer_load_dwordx4 a[200:203], v48, s[84:87], 0 offen     // 000000003DFC: E05C1000 8095C830
	v_mfma_i32_16x16x32_i8 v[136:139], a[52:53], a[28:29], v[136:139]// 000000003E04: D3D70088 1E223934
	v_mfma_i32_16x16x32_i8 v[136:139], a[54:55], a[30:31], v[136:139]// 000000003E0C: D3D70088 1E223D36
	v_mfma_i32_16x16x32_i8 v[144:147], a[56:57], a[24:25], v[144:147]// 000000003E14: D3D70090 1E423138
	v_mfma_i32_16x16x32_i8 v[144:147], a[58:59], a[26:27], v[144:147]// 000000003E1C: D3D70090 1E42353A
	buffer_load_dwordx4 a[204:207], v48, s[84:87], 0 offen offset:1024// 000000003E24: E05C1400 8095CC30
	v_mfma_i32_16x16x32_i8 v[144:147], a[60:61], a[28:29], v[144:147]// 000000003E2C: D3D70090 1E42393C
	v_mfma_i32_16x16x32_i8 v[144:147], a[62:63], a[30:31], v[144:147]// 000000003E34: D3D70090 1E423D3E
	v_mfma_i32_16x16x32_i8 v[152:155], a[64:65], a[24:25], v[152:155]// 000000003E3C: D3D70098 1E623140
	v_mfma_i32_16x16x32_i8 v[152:155], a[66:67], a[26:27], v[152:155]// 000000003E44: D3D70098 1E623542
	buffer_load_dwordx4 a[208:211], v49, s[84:87], 0 offen     // 000000003E4C: E05C1000 8095D031
	v_mfma_i32_16x16x32_i8 v[152:155], a[68:69], a[28:29], v[152:155]// 000000003E54: D3D70098 1E623944
	v_mfma_i32_16x16x32_i8 v[152:155], a[70:71], a[30:31], v[152:155]// 000000003E5C: D3D70098 1E623D46
	v_mfma_i32_16x16x32_i8 v[160:163], a[72:73], a[24:25], v[160:163]// 000000003E64: D3D700A0 1E823148
	v_mfma_i32_16x16x32_i8 v[160:163], a[74:75], a[26:27], v[160:163]// 000000003E6C: D3D700A0 1E82354A
	buffer_load_dwordx4 a[212:215], v49, s[84:87], 0 offen offset:1024// 000000003E74: E05C1400 8095D431
	v_mfma_i32_16x16x32_i8 v[160:163], a[76:77], a[28:29], v[160:163]// 000000003E7C: D3D700A0 1E82394C
	v_mfma_i32_16x16x32_i8 v[160:163], a[78:79], a[30:31], v[160:163]// 000000003E84: D3D700A0 1E823D4E
	v_mfma_i32_16x16x32_i8 v[168:171], a[80:81], a[24:25], v[168:171]// 000000003E8C: D3D700A8 1EA23150
	s_add_u32 s60, 0x180, s80                                  // 000000003E94: 803C50FF 00000180
	s_cmp_lt_u32 s60, s81                                      // 000000003E9C: BF0A513C
	s_cselect_b32 s57, s57, 0                                  // 000000003EA0: 85398039
	v_mfma_i32_16x16x32_i8 v[168:171], a[82:83], a[26:27], v[168:171]// 000000003EA4: D3D700A8 1EA23552
	buffer_load_dwordx4 a[216:219], v50, s[84:87], 0 offen     // 000000003EAC: E05C1000 8095D832
	s_add_u32 s60, 0x100, s80                                  // 000000003EB4: 803C50FF 00000100
	s_cmp_lt_u32 s60, s81                                      // 000000003EBC: BF0A513C
	s_cselect_b32 s58, s58, 0                                  // 000000003EC0: 853A803A
	v_mfma_i32_16x16x32_i8 v[168:171], a[84:85], a[28:29], v[168:171]// 000000003EC4: D3D700A8 1EA23954
	s_add_u32 s60, 0x100, s80                                  // 000000003ECC: 803C50FF 00000100
	s_cmp_lt_u32 s60, s81                                      // 000000003ED4: BF0A513C
	s_cselect_b32 s83, s83, 0                                  // 000000003ED8: 85538053
	v_mfma_i32_16x16x32_i8 v[168:171], a[86:87], a[30:31], v[168:171]// 000000003EDC: D3D700A8 1EA23D56
	s_add_u32 s24, s58, s24                                    // 000000003EE4: 8018183A
	s_addc_u32 s25, 0, s25                                     // 000000003EE8: 82191980
	v_mfma_i32_16x16x32_i8 v[176:179], a[88:89], a[24:25], v[176:179]// 000000003EEC: D3D700B0 1EC23158
	s_add_u32 s20, s57, s20                                    // 000000003EF4: 80141439
	s_addc_u32 s21, 0, s21                                     // 000000003EF8: 82151580
	v_mfma_i32_16x16x32_i8 v[176:179], a[90:91], a[26:27], v[176:179]// 000000003EFC: D3D700B0 1EC2355A
	buffer_load_dwordx4 a[220:223], v50, s[84:87], 0 offen offset:1024// 000000003F04: E05C1400 8095DC32
	s_add_u32 s84, s83, s84                                    // 000000003F0C: 80545453
	s_addc_u32 s85, 0, s85                                     // 000000003F10: 82555580
	v_mfma_i32_16x16x32_i8 v[176:179], a[92:93], a[28:29], v[176:179]// 000000003F14: D3D700B0 1EC2395C
	v_mfma_i32_16x16x32_i8 v[176:179], a[94:95], a[30:31], v[176:179]// 000000003F1C: D3D700B0 1EC23D5E
	s_addk_i32 s80, 0x80                                       // 000000003F24: B7500080
	s_cmp_lt_i32 s80, s81                                      // 000000003F28: BF045150
	s_cbranch_scc0 label_0B09                                  // 000000003F2C: BF8405BD
	s_waitcnt vmcnt(20) lgkmcnt(0)                             // 000000003F30: BF8C4074
	v_mfma_i32_16x16x32_i8 v[52:55], a[96:97], a[0:1], v[52:55]// 000000003F34: D3D70034 1CD20160
	v_mfma_i32_16x16x32_i8 v[52:55], a[98:99], a[2:3], v[52:55]// 000000003F3C: D3D70034 1CD20562
	buffer_load_dwordx4 a[32:35], v43, s[24:27], 0 offen       // 000000003F44: E05C1000 8086202B
	v_mfma_i32_16x16x32_i8 v[52:55], a[100:101], a[4:5], v[52:55]// 000000003F4C: D3D70034 1CD20964
	v_mfma_i32_16x16x32_i8 v[52:55], a[102:103], a[6:7], v[52:55]// 000000003F54: D3D70034 1CD20D66
	v_mfma_i32_16x16x32_i8 v[60:63], a[104:105], a[0:1], v[60:63]// 000000003F5C: D3D7003C 1CF20168
	v_mfma_i32_16x16x32_i8 v[60:63], a[106:107], a[2:3], v[60:63]// 000000003F64: D3D7003C 1CF2056A
	buffer_load_dwordx4 a[36:39], v43, s[24:27], 0 offen offset:1024// 000000003F6C: E05C1400 8086242B
	v_mfma_i32_16x16x32_i8 v[60:63], a[108:109], a[4:5], v[60:63]// 000000003F74: D3D7003C 1CF2096C
	v_mfma_i32_16x16x32_i8 v[60:63], a[110:111], a[6:7], v[60:63]// 000000003F7C: D3D7003C 1CF20D6E
	v_mfma_i32_16x16x32_i8 v[68:71], a[112:113], a[0:1], v[68:71]// 000000003F84: D3D70044 1D120170
	v_mfma_i32_16x16x32_i8 v[68:71], a[114:115], a[2:3], v[68:71]// 000000003F8C: D3D70044 1D120572
	buffer_load_dwordx4 a[40:43], v44, s[24:27], 0 offen       // 000000003F94: E05C1000 8086282C
	v_mfma_i32_16x16x32_i8 v[68:71], a[116:117], a[4:5], v[68:71]// 000000003F9C: D3D70044 1D120974
	v_mfma_i32_16x16x32_i8 v[68:71], a[118:119], a[6:7], v[68:71]// 000000003FA4: D3D70044 1D120D76
	v_mfma_i32_16x16x32_i8 v[76:79], a[120:121], a[0:1], v[76:79]// 000000003FAC: D3D7004C 1D320178
	v_mfma_i32_16x16x32_i8 v[76:79], a[122:123], a[2:3], v[76:79]// 000000003FB4: D3D7004C 1D32057A
	buffer_load_dwordx4 a[44:47], v44, s[24:27], 0 offen offset:1024// 000000003FBC: E05C1400 80862C2C
	v_mfma_i32_16x16x32_i8 v[76:79], a[124:125], a[4:5], v[76:79]// 000000003FC4: D3D7004C 1D32097C
	v_mfma_i32_16x16x32_i8 v[76:79], a[126:127], a[6:7], v[76:79]// 000000003FCC: D3D7004C 1D320D7E
	v_mfma_i32_16x16x32_i8 v[84:87], a[128:129], a[0:1], v[84:87]// 000000003FD4: D3D70054 1D520180
	v_mfma_i32_16x16x32_i8 v[84:87], a[130:131], a[2:3], v[84:87]// 000000003FDC: D3D70054 1D520582
	buffer_load_dwordx4 a[48:51], v45, s[24:27], 0 offen       // 000000003FE4: E05C1000 8086302D
	v_mfma_i32_16x16x32_i8 v[84:87], a[132:133], a[4:5], v[84:87]// 000000003FEC: D3D70054 1D520984
	v_mfma_i32_16x16x32_i8 v[84:87], a[134:135], a[6:7], v[84:87]// 000000003FF4: D3D70054 1D520D86
	v_mfma_i32_16x16x32_i8 v[92:95], a[136:137], a[0:1], v[92:95]// 000000003FFC: D3D7005C 1D720188
	v_mfma_i32_16x16x32_i8 v[92:95], a[138:139], a[2:3], v[92:95]// 000000004004: D3D7005C 1D72058A
	buffer_load_dwordx4 a[52:55], v45, s[24:27], 0 offen offset:1024// 00000000400C: E05C1400 8086342D
	v_mfma_i32_16x16x32_i8 v[92:95], a[140:141], a[4:5], v[92:95]// 000000004014: D3D7005C 1D72098C
	v_mfma_i32_16x16x32_i8 v[92:95], a[142:143], a[6:7], v[92:95]// 00000000401C: D3D7005C 1D720D8E
	v_mfma_i32_16x16x32_i8 v[100:103], a[144:145], a[0:1], v[100:103]// 000000004024: D3D70064 1D920190
	v_mfma_i32_16x16x32_i8 v[100:103], a[146:147], a[2:3], v[100:103]// 00000000402C: D3D70064 1D920592
	buffer_load_dwordx4 a[56:59], v46, s[24:27], 0 offen       // 000000004034: E05C1000 8086382E
	v_mfma_i32_16x16x32_i8 v[100:103], a[148:149], a[4:5], v[100:103]// 00000000403C: D3D70064 1D920994
	v_mfma_i32_16x16x32_i8 v[100:103], a[150:151], a[6:7], v[100:103]// 000000004044: D3D70064 1D920D96
	v_mfma_i32_16x16x32_i8 v[108:111], a[152:153], a[0:1], v[108:111]// 00000000404C: D3D7006C 1DB20198
	v_mfma_i32_16x16x32_i8 v[108:111], a[154:155], a[2:3], v[108:111]// 000000004054: D3D7006C 1DB2059A
	buffer_load_dwordx4 a[60:63], v46, s[24:27], 0 offen offset:1024// 00000000405C: E05C1400 80863C2E
	v_mfma_i32_16x16x32_i8 v[108:111], a[156:157], a[4:5], v[108:111]// 000000004064: D3D7006C 1DB2099C
	v_mfma_i32_16x16x32_i8 v[108:111], a[158:159], a[6:7], v[108:111]// 00000000406C: D3D7006C 1DB20D9E
	v_mfma_i32_16x16x32_i8 v[56:59], a[96:97], a[8:9], v[56:59]// 000000004074: D3D70038 1CE21160
	v_mfma_i32_16x16x32_i8 v[56:59], a[98:99], a[10:11], v[56:59]// 00000000407C: D3D70038 1CE21562
	buffer_load_dwordx4 a[64:67], v47, s[24:27], 0 offen       // 000000004084: E05C1000 8086402F
	v_mfma_i32_16x16x32_i8 v[56:59], a[100:101], a[12:13], v[56:59]// 00000000408C: D3D70038 1CE21964
	v_mfma_i32_16x16x32_i8 v[56:59], a[102:103], a[14:15], v[56:59]// 000000004094: D3D70038 1CE21D66
	v_mfma_i32_16x16x32_i8 v[64:67], a[104:105], a[8:9], v[64:67]// 00000000409C: D3D70040 1D021168
	v_mfma_i32_16x16x32_i8 v[64:67], a[106:107], a[10:11], v[64:67]// 0000000040A4: D3D70040 1D02156A
	buffer_load_dwordx4 a[68:71], v47, s[24:27], 0 offen offset:1024// 0000000040AC: E05C1400 8086442F
	v_mfma_i32_16x16x32_i8 v[64:67], a[108:109], a[12:13], v[64:67]// 0000000040B4: D3D70040 1D02196C
	v_mfma_i32_16x16x32_i8 v[64:67], a[110:111], a[14:15], v[64:67]// 0000000040BC: D3D70040 1D021D6E
	v_mfma_i32_16x16x32_i8 v[72:75], a[112:113], a[8:9], v[72:75]// 0000000040C4: D3D70048 1D221170
	v_mfma_i32_16x16x32_i8 v[72:75], a[114:115], a[10:11], v[72:75]// 0000000040CC: D3D70048 1D221572
	buffer_load_dwordx4 a[72:75], v48, s[24:27], 0 offen       // 0000000040D4: E05C1000 80864830
	v_mfma_i32_16x16x32_i8 v[72:75], a[116:117], a[12:13], v[72:75]// 0000000040DC: D3D70048 1D221974
	v_mfma_i32_16x16x32_i8 v[72:75], a[118:119], a[14:15], v[72:75]// 0000000040E4: D3D70048 1D221D76
	v_mfma_i32_16x16x32_i8 v[80:83], a[120:121], a[8:9], v[80:83]// 0000000040EC: D3D70050 1D421178
	v_mfma_i32_16x16x32_i8 v[80:83], a[122:123], a[10:11], v[80:83]// 0000000040F4: D3D70050 1D42157A
	buffer_load_dwordx4 a[76:79], v48, s[24:27], 0 offen offset:1024// 0000000040FC: E05C1400 80864C30
	v_mfma_i32_16x16x32_i8 v[80:83], a[124:125], a[12:13], v[80:83]// 000000004104: D3D70050 1D42197C
	v_mfma_i32_16x16x32_i8 v[80:83], a[126:127], a[14:15], v[80:83]// 00000000410C: D3D70050 1D421D7E
	v_mfma_i32_16x16x32_i8 v[88:91], a[128:129], a[8:9], v[88:91]// 000000004114: D3D70058 1D621180
	v_mfma_i32_16x16x32_i8 v[88:91], a[130:131], a[10:11], v[88:91]// 00000000411C: D3D70058 1D621582
	buffer_load_dwordx4 a[80:83], v49, s[24:27], 0 offen       // 000000004124: E05C1000 80865031
	v_mfma_i32_16x16x32_i8 v[88:91], a[132:133], a[12:13], v[88:91]// 00000000412C: D3D70058 1D621984
	v_mfma_i32_16x16x32_i8 v[88:91], a[134:135], a[14:15], v[88:91]// 000000004134: D3D70058 1D621D86
	v_mfma_i32_16x16x32_i8 v[96:99], a[136:137], a[8:9], v[96:99]// 00000000413C: D3D70060 1D821188
	v_mfma_i32_16x16x32_i8 v[96:99], a[138:139], a[10:11], v[96:99]// 000000004144: D3D70060 1D82158A
	buffer_load_dwordx4 a[84:87], v49, s[24:27], 0 offen offset:1024// 00000000414C: E05C1400 80865431
	v_mfma_i32_16x16x32_i8 v[96:99], a[140:141], a[12:13], v[96:99]// 000000004154: D3D70060 1D82198C
	v_mfma_i32_16x16x32_i8 v[96:99], a[142:143], a[14:15], v[96:99]// 00000000415C: D3D70060 1D821D8E
	v_mfma_i32_16x16x32_i8 v[104:107], a[144:145], a[8:9], v[104:107]// 000000004164: D3D70068 1DA21190
	v_mfma_i32_16x16x32_i8 v[104:107], a[146:147], a[10:11], v[104:107]// 00000000416C: D3D70068 1DA21592
	buffer_load_dwordx4 a[88:91], v50, s[24:27], 0 offen       // 000000004174: E05C1000 80865832
	v_mfma_i32_16x16x32_i8 v[104:107], a[148:149], a[12:13], v[104:107]// 00000000417C: D3D70068 1DA21994
	v_mfma_i32_16x16x32_i8 v[104:107], a[150:151], a[14:15], v[104:107]// 000000004184: D3D70068 1DA21D96
	v_mfma_i32_16x16x32_i8 v[112:115], a[152:153], a[8:9], v[112:115]// 00000000418C: D3D70070 1DC21198
	v_mfma_i32_16x16x32_i8 v[112:115], a[154:155], a[10:11], v[112:115]// 000000004194: D3D70070 1DC2159A
	buffer_load_dwordx4 a[92:95], v50, s[24:27], 0 offen offset:1024// 00000000419C: E05C1400 80865C32
	buffer_load_dword v39, s[20:23], 0 offen lds               // 0000000041A4: E0511000 80050027
	s_add_u32 m0, 0x100, s49                                   // 0000000041AC: 807C31FF 00000100
	v_mfma_i32_16x16x32_i8 v[112:115], a[156:157], a[12:13], v[112:115]// 0000000041B4: D3D70070 1DC2199C
	v_mfma_i32_16x16x32_i8 v[112:115], a[158:159], a[14:15], v[112:115]// 0000000041BC: D3D70070 1DC21D9E
	buffer_load_dword v40, s[20:23], 0 offen lds               // 0000000041C4: E0511000 80050028
	s_add_u32 m0, 0x200, s49                                   // 0000000041CC: 807C31FF 00000200
	buffer_load_dword v41, s[20:23], 0 offen lds               // 0000000041D4: E0511000 80050029
	s_add_u32 m0, 0x300, s49                                   // 0000000041DC: 807C31FF 00000300
	buffer_load_dword v42, s[20:23], 0 offen lds               // 0000000041E4: E0511000 8005002A
	s_add_u32 m0, 0, s50                                       // 0000000041EC: 807C3280
	s_waitcnt vmcnt(20)                                        // 0000000041F0: BF8C4F74
	s_barrier                                                  // 0000000041F4: BF8A0000
	v_mfma_i32_16x16x32_i8 v[116:119], a[160:161], a[0:1], v[116:119]// 0000000041F8: D3D70074 1DD201A0
	v_mfma_i32_16x16x32_i8 v[116:119], a[162:163], a[2:3], v[116:119]// 000000004200: D3D70074 1DD205A2
	buffer_load_dwordx4 a[96:99], v43, s[84:87], 0 offen       // 000000004208: E05C1000 8095602B
	v_mfma_i32_16x16x32_i8 v[116:119], a[164:165], a[4:5], v[116:119]// 000000004210: D3D70074 1DD209A4
	v_mfma_i32_16x16x32_i8 v[116:119], a[166:167], a[6:7], v[116:119]// 000000004218: D3D70074 1DD20DA6
	ds_read_b128 a[16:19], v2                                  // 000000004220: DBFE0000 10000002
	ds_read_b128 a[20:23], v2 offset:64                        // 000000004228: DBFE0040 14000002
	v_mfma_i32_16x16x32_i8 v[124:127], a[168:169], a[0:1], v[124:127]// 000000004230: D3D7007C 1DF201A8
	v_mfma_i32_16x16x32_i8 v[124:127], a[170:171], a[2:3], v[124:127]// 000000004238: D3D7007C 1DF205AA
	buffer_load_dwordx4 a[100:103], v43, s[84:87], 0 offen offset:1024// 000000004240: E05C1400 8095642B
	v_mfma_i32_16x16x32_i8 v[124:127], a[172:173], a[4:5], v[124:127]// 000000004248: D3D7007C 1DF209AC
	v_mfma_i32_16x16x32_i8 v[124:127], a[174:175], a[6:7], v[124:127]// 000000004250: D3D7007C 1DF20DAE
	ds_read_b128 a[24:27], v2 offset:512                       // 000000004258: DBFE0200 18000002
	ds_read_b128 a[28:31], v2 offset:576                       // 000000004260: DBFE0240 1C000002
	v_mfma_i32_16x16x32_i8 v[132:135], a[176:177], a[0:1], v[132:135]// 000000004268: D3D70084 1E1201B0
	v_mfma_i32_16x16x32_i8 v[132:135], a[178:179], a[2:3], v[132:135]// 000000004270: D3D70084 1E1205B2
	buffer_load_dwordx4 a[104:107], v44, s[84:87], 0 offen     // 000000004278: E05C1000 8095682C
	v_mfma_i32_16x16x32_i8 v[132:135], a[180:181], a[4:5], v[132:135]// 000000004280: D3D70084 1E1209B4
	v_mfma_i32_16x16x32_i8 v[132:135], a[182:183], a[6:7], v[132:135]// 000000004288: D3D70084 1E120DB6
	v_mfma_i32_16x16x32_i8 v[140:143], a[184:185], a[0:1], v[140:143]// 000000004290: D3D7008C 1E3201B8
	v_mfma_i32_16x16x32_i8 v[140:143], a[186:187], a[2:3], v[140:143]// 000000004298: D3D7008C 1E3205BA
	buffer_load_dwordx4 a[108:111], v44, s[84:87], 0 offen offset:1024// 0000000042A0: E05C1400 80956C2C
	v_mfma_i32_16x16x32_i8 v[140:143], a[188:189], a[4:5], v[140:143]// 0000000042A8: D3D7008C 1E3209BC
	v_mfma_i32_16x16x32_i8 v[140:143], a[190:191], a[6:7], v[140:143]// 0000000042B0: D3D7008C 1E320DBE
	v_mfma_i32_16x16x32_i8 v[148:151], a[192:193], a[0:1], v[148:151]// 0000000042B8: D3D70094 1E5201C0
	v_mfma_i32_16x16x32_i8 v[148:151], a[194:195], a[2:3], v[148:151]// 0000000042C0: D3D70094 1E5205C2
	buffer_load_dwordx4 a[112:115], v45, s[84:87], 0 offen     // 0000000042C8: E05C1000 8095702D
	v_mfma_i32_16x16x32_i8 v[148:151], a[196:197], a[4:5], v[148:151]// 0000000042D0: D3D70094 1E5209C4
	v_mfma_i32_16x16x32_i8 v[148:151], a[198:199], a[6:7], v[148:151]// 0000000042D8: D3D70094 1E520DC6
	v_mfma_i32_16x16x32_i8 v[156:159], a[200:201], a[0:1], v[156:159]// 0000000042E0: D3D7009C 1E7201C8
	v_mfma_i32_16x16x32_i8 v[156:159], a[202:203], a[2:3], v[156:159]// 0000000042E8: D3D7009C 1E7205CA
	buffer_load_dwordx4 a[116:119], v45, s[84:87], 0 offen offset:1024// 0000000042F0: E05C1400 8095742D
	v_mfma_i32_16x16x32_i8 v[156:159], a[204:205], a[4:5], v[156:159]// 0000000042F8: D3D7009C 1E7209CC
	v_mfma_i32_16x16x32_i8 v[156:159], a[206:207], a[6:7], v[156:159]// 000000004300: D3D7009C 1E720DCE
	v_mfma_i32_16x16x32_i8 v[164:167], a[208:209], a[0:1], v[164:167]// 000000004308: D3D700A4 1E9201D0
	v_mfma_i32_16x16x32_i8 v[164:167], a[210:211], a[2:3], v[164:167]// 000000004310: D3D700A4 1E9205D2
	buffer_load_dwordx4 a[120:123], v46, s[84:87], 0 offen     // 000000004318: E05C1000 8095782E
	v_mfma_i32_16x16x32_i8 v[164:167], a[212:213], a[4:5], v[164:167]// 000000004320: D3D700A4 1E9209D4
	v_mfma_i32_16x16x32_i8 v[164:167], a[214:215], a[6:7], v[164:167]// 000000004328: D3D700A4 1E920DD6
	v_mfma_i32_16x16x32_i8 v[172:175], a[216:217], a[0:1], v[172:175]// 000000004330: D3D700AC 1EB201D8
	v_mfma_i32_16x16x32_i8 v[172:175], a[218:219], a[2:3], v[172:175]// 000000004338: D3D700AC 1EB205DA
	buffer_load_dwordx4 a[124:127], v46, s[84:87], 0 offen offset:1024// 000000004340: E05C1400 80957C2E
	v_mfma_i32_16x16x32_i8 v[172:175], a[220:221], a[4:5], v[172:175]// 000000004348: D3D700AC 1EB209DC
	v_mfma_i32_16x16x32_i8 v[172:175], a[222:223], a[6:7], v[172:175]// 000000004350: D3D700AC 1EB20DDE
	v_mfma_i32_16x16x32_i8 v[120:123], a[160:161], a[8:9], v[120:123]// 000000004358: D3D70078 1DE211A0
	v_mfma_i32_16x16x32_i8 v[120:123], a[162:163], a[10:11], v[120:123]// 000000004360: D3D70078 1DE215A2
	buffer_load_dwordx4 a[128:131], v47, s[84:87], 0 offen     // 000000004368: E05C1000 8095802F
	v_mfma_i32_16x16x32_i8 v[120:123], a[164:165], a[12:13], v[120:123]// 000000004370: D3D70078 1DE219A4
	v_mfma_i32_16x16x32_i8 v[120:123], a[166:167], a[14:15], v[120:123]// 000000004378: D3D70078 1DE21DA6
	v_mfma_i32_16x16x32_i8 v[128:131], a[168:169], a[8:9], v[128:131]// 000000004380: D3D70080 1E0211A8
	v_mfma_i32_16x16x32_i8 v[128:131], a[170:171], a[10:11], v[128:131]// 000000004388: D3D70080 1E0215AA
	buffer_load_dwordx4 a[132:135], v47, s[84:87], 0 offen offset:1024// 000000004390: E05C1400 8095842F
	v_mfma_i32_16x16x32_i8 v[128:131], a[172:173], a[12:13], v[128:131]// 000000004398: D3D70080 1E0219AC
	v_mfma_i32_16x16x32_i8 v[128:131], a[174:175], a[14:15], v[128:131]// 0000000043A0: D3D70080 1E021DAE
	v_mfma_i32_16x16x32_i8 v[136:139], a[176:177], a[8:9], v[136:139]// 0000000043A8: D3D70088 1E2211B0
	v_mfma_i32_16x16x32_i8 v[136:139], a[178:179], a[10:11], v[136:139]// 0000000043B0: D3D70088 1E2215B2
	buffer_load_dwordx4 a[136:139], v48, s[84:87], 0 offen     // 0000000043B8: E05C1000 80958830
	v_mfma_i32_16x16x32_i8 v[136:139], a[180:181], a[12:13], v[136:139]// 0000000043C0: D3D70088 1E2219B4
	v_mfma_i32_16x16x32_i8 v[136:139], a[182:183], a[14:15], v[136:139]// 0000000043C8: D3D70088 1E221DB6
	v_mfma_i32_16x16x32_i8 v[144:147], a[184:185], a[8:9], v[144:147]// 0000000043D0: D3D70090 1E4211B8
	v_mfma_i32_16x16x32_i8 v[144:147], a[186:187], a[10:11], v[144:147]// 0000000043D8: D3D70090 1E4215BA
	buffer_load_dwordx4 a[140:143], v48, s[84:87], 0 offen offset:1024// 0000000043E0: E05C1400 80958C30
	v_mfma_i32_16x16x32_i8 v[144:147], a[188:189], a[12:13], v[144:147]// 0000000043E8: D3D70090 1E4219BC
	v_mfma_i32_16x16x32_i8 v[144:147], a[190:191], a[14:15], v[144:147]// 0000000043F0: D3D70090 1E421DBE
	v_mfma_i32_16x16x32_i8 v[152:155], a[192:193], a[8:9], v[152:155]// 0000000043F8: D3D70098 1E6211C0
	v_mfma_i32_16x16x32_i8 v[152:155], a[194:195], a[10:11], v[152:155]// 000000004400: D3D70098 1E6215C2
	buffer_load_dwordx4 a[144:147], v49, s[84:87], 0 offen     // 000000004408: E05C1000 80959031
	v_mfma_i32_16x16x32_i8 v[152:155], a[196:197], a[12:13], v[152:155]// 000000004410: D3D70098 1E6219C4
	v_mfma_i32_16x16x32_i8 v[152:155], a[198:199], a[14:15], v[152:155]// 000000004418: D3D70098 1E621DC6
	v_mfma_i32_16x16x32_i8 v[160:163], a[200:201], a[8:9], v[160:163]// 000000004420: D3D700A0 1E8211C8
	v_mfma_i32_16x16x32_i8 v[160:163], a[202:203], a[10:11], v[160:163]// 000000004428: D3D700A0 1E8215CA
	buffer_load_dwordx4 a[148:151], v49, s[84:87], 0 offen offset:1024// 000000004430: E05C1400 80959431
	v_mfma_i32_16x16x32_i8 v[160:163], a[204:205], a[12:13], v[160:163]// 000000004438: D3D700A0 1E8219CC
	v_mfma_i32_16x16x32_i8 v[160:163], a[206:207], a[14:15], v[160:163]// 000000004440: D3D700A0 1E821DCE
	v_mfma_i32_16x16x32_i8 v[168:171], a[208:209], a[8:9], v[168:171]// 000000004448: D3D700A8 1EA211D0
	s_add_u32 s60, 0x180, s80                                  // 000000004450: 803C50FF 00000180
	s_cmp_lt_u32 s60, s81                                      // 000000004458: BF0A513C
	s_cselect_b32 s57, s57, 0                                  // 00000000445C: 85398039
	v_mfma_i32_16x16x32_i8 v[168:171], a[210:211], a[10:11], v[168:171]// 000000004460: D3D700A8 1EA215D2
	buffer_load_dwordx4 a[152:155], v50, s[84:87], 0 offen     // 000000004468: E05C1000 80959832
	s_add_u32 s60, 0x100, s80                                  // 000000004470: 803C50FF 00000100
	s_cmp_lt_u32 s60, s81                                      // 000000004478: BF0A513C
	s_cselect_b32 s58, s58, 0                                  // 00000000447C: 853A803A
	v_mfma_i32_16x16x32_i8 v[168:171], a[212:213], a[12:13], v[168:171]// 000000004480: D3D700A8 1EA219D4
	s_add_u32 s60, 0x100, s80                                  // 000000004488: 803C50FF 00000100
	s_cmp_lt_u32 s60, s81                                      // 000000004490: BF0A513C
	s_cselect_b32 s83, s83, 0                                  // 000000004494: 85538053
	v_mfma_i32_16x16x32_i8 v[168:171], a[214:215], a[14:15], v[168:171]// 000000004498: D3D700A8 1EA21DD6
	s_add_u32 s24, s58, s24                                    // 0000000044A0: 8018183A
	s_addc_u32 s25, 0, s25                                     // 0000000044A4: 82191980
	v_mfma_i32_16x16x32_i8 v[176:179], a[216:217], a[8:9], v[176:179]// 0000000044A8: D3D700B0 1EC211D8
	s_add_u32 s20, s57, s20                                    // 0000000044B0: 80141439
	s_addc_u32 s21, 0, s21                                     // 0000000044B4: 82151580
	v_mfma_i32_16x16x32_i8 v[176:179], a[218:219], a[10:11], v[176:179]// 0000000044B8: D3D700B0 1EC215DA
	buffer_load_dwordx4 a[156:159], v50, s[84:87], 0 offen offset:1024// 0000000044C0: E05C1400 80959C32
	s_add_u32 s84, s83, s84                                    // 0000000044C8: 80545453
	s_addc_u32 s85, 0, s85                                     // 0000000044CC: 82555580
	v_mfma_i32_16x16x32_i8 v[176:179], a[220:221], a[12:13], v[176:179]// 0000000044D0: D3D700B0 1EC219DC
	v_mfma_i32_16x16x32_i8 v[176:179], a[222:223], a[14:15], v[176:179]// 0000000044D8: D3D700B0 1EC21DDE
	s_addk_i32 s80, 0x80                                       // 0000000044E0: B7500080
	s_cmp_lt_i32 s80, s81                                      // 0000000044E4: BF045150
	s_cbranch_scc0 label_0B09                                  // 0000000044E8: BF84044E
	s_waitcnt vmcnt(20) lgkmcnt(0)                             // 0000000044EC: BF8C4074
	v_mfma_i32_16x16x32_i8 v[52:55], a[32:33], a[16:17], v[52:55]// 0000000044F0: D3D70034 1CD22120
	v_mfma_i32_16x16x32_i8 v[52:55], a[34:35], a[18:19], v[52:55]// 0000000044F8: D3D70034 1CD22522
	buffer_load_dwordx4 a[160:163], v43, s[24:27], 0 offen     // 000000004500: E05C1000 8086A02B
	v_mfma_i32_16x16x32_i8 v[52:55], a[36:37], a[20:21], v[52:55]// 000000004508: D3D70034 1CD22924
	v_mfma_i32_16x16x32_i8 v[52:55], a[38:39], a[22:23], v[52:55]// 000000004510: D3D70034 1CD22D26
	v_mfma_i32_16x16x32_i8 v[60:63], a[40:41], a[16:17], v[60:63]// 000000004518: D3D7003C 1CF22128
	v_mfma_i32_16x16x32_i8 v[60:63], a[42:43], a[18:19], v[60:63]// 000000004520: D3D7003C 1CF2252A
	buffer_load_dwordx4 a[164:167], v43, s[24:27], 0 offen offset:1024// 000000004528: E05C1400 8086A42B
	v_mfma_i32_16x16x32_i8 v[60:63], a[44:45], a[20:21], v[60:63]// 000000004530: D3D7003C 1CF2292C
	v_mfma_i32_16x16x32_i8 v[60:63], a[46:47], a[22:23], v[60:63]// 000000004538: D3D7003C 1CF22D2E
	v_mfma_i32_16x16x32_i8 v[68:71], a[48:49], a[16:17], v[68:71]// 000000004540: D3D70044 1D122130
	v_mfma_i32_16x16x32_i8 v[68:71], a[50:51], a[18:19], v[68:71]// 000000004548: D3D70044 1D122532
	buffer_load_dwordx4 a[168:171], v44, s[24:27], 0 offen     // 000000004550: E05C1000 8086A82C
	v_mfma_i32_16x16x32_i8 v[68:71], a[52:53], a[20:21], v[68:71]// 000000004558: D3D70044 1D122934
	v_mfma_i32_16x16x32_i8 v[68:71], a[54:55], a[22:23], v[68:71]// 000000004560: D3D70044 1D122D36
	v_mfma_i32_16x16x32_i8 v[76:79], a[56:57], a[16:17], v[76:79]// 000000004568: D3D7004C 1D322138
	v_mfma_i32_16x16x32_i8 v[76:79], a[58:59], a[18:19], v[76:79]// 000000004570: D3D7004C 1D32253A
	buffer_load_dwordx4 a[172:175], v44, s[24:27], 0 offen offset:1024// 000000004578: E05C1400 8086AC2C
	v_mfma_i32_16x16x32_i8 v[76:79], a[60:61], a[20:21], v[76:79]// 000000004580: D3D7004C 1D32293C
	v_mfma_i32_16x16x32_i8 v[76:79], a[62:63], a[22:23], v[76:79]// 000000004588: D3D7004C 1D322D3E
	v_mfma_i32_16x16x32_i8 v[84:87], a[64:65], a[16:17], v[84:87]// 000000004590: D3D70054 1D522140
	v_mfma_i32_16x16x32_i8 v[84:87], a[66:67], a[18:19], v[84:87]// 000000004598: D3D70054 1D522542
	buffer_load_dwordx4 a[176:179], v45, s[24:27], 0 offen     // 0000000045A0: E05C1000 8086B02D
	v_mfma_i32_16x16x32_i8 v[84:87], a[68:69], a[20:21], v[84:87]// 0000000045A8: D3D70054 1D522944
	v_mfma_i32_16x16x32_i8 v[84:87], a[70:71], a[22:23], v[84:87]// 0000000045B0: D3D70054 1D522D46
	v_mfma_i32_16x16x32_i8 v[92:95], a[72:73], a[16:17], v[92:95]// 0000000045B8: D3D7005C 1D722148
	v_mfma_i32_16x16x32_i8 v[92:95], a[74:75], a[18:19], v[92:95]// 0000000045C0: D3D7005C 1D72254A
	buffer_load_dwordx4 a[180:183], v45, s[24:27], 0 offen offset:1024// 0000000045C8: E05C1400 8086B42D
	v_mfma_i32_16x16x32_i8 v[92:95], a[76:77], a[20:21], v[92:95]// 0000000045D0: D3D7005C 1D72294C
	v_mfma_i32_16x16x32_i8 v[92:95], a[78:79], a[22:23], v[92:95]// 0000000045D8: D3D7005C 1D722D4E
	v_mfma_i32_16x16x32_i8 v[100:103], a[80:81], a[16:17], v[100:103]// 0000000045E0: D3D70064 1D922150
	v_mfma_i32_16x16x32_i8 v[100:103], a[82:83], a[18:19], v[100:103]// 0000000045E8: D3D70064 1D922552
	buffer_load_dwordx4 a[184:187], v46, s[24:27], 0 offen     // 0000000045F0: E05C1000 8086B82E
	v_mfma_i32_16x16x32_i8 v[100:103], a[84:85], a[20:21], v[100:103]// 0000000045F8: D3D70064 1D922954
	v_mfma_i32_16x16x32_i8 v[100:103], a[86:87], a[22:23], v[100:103]// 000000004600: D3D70064 1D922D56
	v_mfma_i32_16x16x32_i8 v[108:111], a[88:89], a[16:17], v[108:111]// 000000004608: D3D7006C 1DB22158
	v_mfma_i32_16x16x32_i8 v[108:111], a[90:91], a[18:19], v[108:111]// 000000004610: D3D7006C 1DB2255A
	buffer_load_dwordx4 a[188:191], v46, s[24:27], 0 offen offset:1024// 000000004618: E05C1400 8086BC2E
	v_mfma_i32_16x16x32_i8 v[108:111], a[92:93], a[20:21], v[108:111]// 000000004620: D3D7006C 1DB2295C
	v_mfma_i32_16x16x32_i8 v[108:111], a[94:95], a[22:23], v[108:111]// 000000004628: D3D7006C 1DB22D5E
	v_mfma_i32_16x16x32_i8 v[56:59], a[32:33], a[24:25], v[56:59]// 000000004630: D3D70038 1CE23120
	v_mfma_i32_16x16x32_i8 v[56:59], a[34:35], a[26:27], v[56:59]// 000000004638: D3D70038 1CE23522
	buffer_load_dwordx4 a[192:195], v47, s[24:27], 0 offen     // 000000004640: E05C1000 8086C02F
	v_mfma_i32_16x16x32_i8 v[56:59], a[36:37], a[28:29], v[56:59]// 000000004648: D3D70038 1CE23924
	v_mfma_i32_16x16x32_i8 v[56:59], a[38:39], a[30:31], v[56:59]// 000000004650: D3D70038 1CE23D26
	v_mfma_i32_16x16x32_i8 v[64:67], a[40:41], a[24:25], v[64:67]// 000000004658: D3D70040 1D023128
	v_mfma_i32_16x16x32_i8 v[64:67], a[42:43], a[26:27], v[64:67]// 000000004660: D3D70040 1D02352A
	buffer_load_dwordx4 a[196:199], v47, s[24:27], 0 offen offset:1024// 000000004668: E05C1400 8086C42F
	v_mfma_i32_16x16x32_i8 v[64:67], a[44:45], a[28:29], v[64:67]// 000000004670: D3D70040 1D02392C
	v_mfma_i32_16x16x32_i8 v[64:67], a[46:47], a[30:31], v[64:67]// 000000004678: D3D70040 1D023D2E
	v_mfma_i32_16x16x32_i8 v[72:75], a[48:49], a[24:25], v[72:75]// 000000004680: D3D70048 1D223130
	v_mfma_i32_16x16x32_i8 v[72:75], a[50:51], a[26:27], v[72:75]// 000000004688: D3D70048 1D223532
	buffer_load_dwordx4 a[200:203], v48, s[24:27], 0 offen     // 000000004690: E05C1000 8086C830
	v_mfma_i32_16x16x32_i8 v[72:75], a[52:53], a[28:29], v[72:75]// 000000004698: D3D70048 1D223934
	v_mfma_i32_16x16x32_i8 v[72:75], a[54:55], a[30:31], v[72:75]// 0000000046A0: D3D70048 1D223D36
	v_mfma_i32_16x16x32_i8 v[80:83], a[56:57], a[24:25], v[80:83]// 0000000046A8: D3D70050 1D423138
	v_mfma_i32_16x16x32_i8 v[80:83], a[58:59], a[26:27], v[80:83]// 0000000046B0: D3D70050 1D42353A
	buffer_load_dwordx4 a[204:207], v48, s[24:27], 0 offen offset:1024// 0000000046B8: E05C1400 8086CC30
	v_mfma_i32_16x16x32_i8 v[80:83], a[60:61], a[28:29], v[80:83]// 0000000046C0: D3D70050 1D42393C
	v_mfma_i32_16x16x32_i8 v[80:83], a[62:63], a[30:31], v[80:83]// 0000000046C8: D3D70050 1D423D3E
	v_mfma_i32_16x16x32_i8 v[88:91], a[64:65], a[24:25], v[88:91]// 0000000046D0: D3D70058 1D623140
	v_mfma_i32_16x16x32_i8 v[88:91], a[66:67], a[26:27], v[88:91]// 0000000046D8: D3D70058 1D623542
	buffer_load_dwordx4 a[208:211], v49, s[24:27], 0 offen     // 0000000046E0: E05C1000 8086D031
	v_mfma_i32_16x16x32_i8 v[88:91], a[68:69], a[28:29], v[88:91]// 0000000046E8: D3D70058 1D623944
	v_mfma_i32_16x16x32_i8 v[88:91], a[70:71], a[30:31], v[88:91]// 0000000046F0: D3D70058 1D623D46
	v_mfma_i32_16x16x32_i8 v[96:99], a[72:73], a[24:25], v[96:99]// 0000000046F8: D3D70060 1D823148
	v_mfma_i32_16x16x32_i8 v[96:99], a[74:75], a[26:27], v[96:99]// 000000004700: D3D70060 1D82354A
	buffer_load_dwordx4 a[212:215], v49, s[24:27], 0 offen offset:1024// 000000004708: E05C1400 8086D431
	v_mfma_i32_16x16x32_i8 v[96:99], a[76:77], a[28:29], v[96:99]// 000000004710: D3D70060 1D82394C
	v_mfma_i32_16x16x32_i8 v[96:99], a[78:79], a[30:31], v[96:99]// 000000004718: D3D70060 1D823D4E
	v_mfma_i32_16x16x32_i8 v[104:107], a[80:81], a[24:25], v[104:107]// 000000004720: D3D70068 1DA23150
	v_mfma_i32_16x16x32_i8 v[104:107], a[82:83], a[26:27], v[104:107]// 000000004728: D3D70068 1DA23552
	buffer_load_dwordx4 a[216:219], v50, s[24:27], 0 offen     // 000000004730: E05C1000 8086D832
	v_mfma_i32_16x16x32_i8 v[104:107], a[84:85], a[28:29], v[104:107]// 000000004738: D3D70068 1DA23954
	v_mfma_i32_16x16x32_i8 v[104:107], a[86:87], a[30:31], v[104:107]// 000000004740: D3D70068 1DA23D56
	v_mfma_i32_16x16x32_i8 v[112:115], a[88:89], a[24:25], v[112:115]// 000000004748: D3D70070 1DC23158
	v_mfma_i32_16x16x32_i8 v[112:115], a[90:91], a[26:27], v[112:115]// 000000004750: D3D70070 1DC2355A
	buffer_load_dwordx4 a[220:223], v50, s[24:27], 0 offen offset:1024// 000000004758: E05C1400 8086DC32
	buffer_load_dword v39, s[20:23], 0 offen lds               // 000000004760: E0511000 80050027
	s_add_u32 m0, 0x100, s50                                   // 000000004768: 807C32FF 00000100
	v_mfma_i32_16x16x32_i8 v[112:115], a[92:93], a[28:29], v[112:115]// 000000004770: D3D70070 1DC2395C
	v_mfma_i32_16x16x32_i8 v[112:115], a[94:95], a[30:31], v[112:115]// 000000004778: D3D70070 1DC23D5E
	buffer_load_dword v40, s[20:23], 0 offen lds               // 000000004780: E0511000 80050028
	s_add_u32 m0, 0x200, s50                                   // 000000004788: 807C32FF 00000200
	buffer_load_dword v41, s[20:23], 0 offen lds               // 000000004790: E0511000 80050029
	s_add_u32 m0, 0x300, s50                                   // 000000004798: 807C32FF 00000300
	buffer_load_dword v42, s[20:23], 0 offen lds               // 0000000047A0: E0511000 8005002A
	s_add_u32 m0, 0, s48                                       // 0000000047A8: 807C3080
	s_waitcnt vmcnt(20)                                        // 0000000047AC: BF8C4F74
	s_barrier                                                  // 0000000047B0: BF8A0000
	v_mfma_i32_16x16x32_i8 v[116:119], a[96:97], a[16:17], v[116:119]// 0000000047B4: D3D70074 1DD22160
	v_mfma_i32_16x16x32_i8 v[116:119], a[98:99], a[18:19], v[116:119]// 0000000047BC: D3D70074 1DD22562
	buffer_load_dwordx4 a[32:35], v43, s[84:87], 0 offen       // 0000000047C4: E05C1000 8095202B
	v_mfma_i32_16x16x32_i8 v[116:119], a[100:101], a[20:21], v[116:119]// 0000000047CC: D3D70074 1DD22964
	v_mfma_i32_16x16x32_i8 v[116:119], a[102:103], a[22:23], v[116:119]// 0000000047D4: D3D70074 1DD22D66
	ds_read_b128 a[0:3], v2 offset:4224                        // 0000000047DC: DBFE1080 00000002
	ds_read_b128 a[4:7], v2 offset:4288                        // 0000000047E4: DBFE10C0 04000002
	v_mfma_i32_16x16x32_i8 v[124:127], a[104:105], a[16:17], v[124:127]// 0000000047EC: D3D7007C 1DF22168
	v_mfma_i32_16x16x32_i8 v[124:127], a[106:107], a[18:19], v[124:127]// 0000000047F4: D3D7007C 1DF2256A
	buffer_load_dwordx4 a[36:39], v43, s[84:87], 0 offen offset:1024// 0000000047FC: E05C1400 8095242B
	v_mfma_i32_16x16x32_i8 v[124:127], a[108:109], a[20:21], v[124:127]// 000000004804: D3D7007C 1DF2296C
	v_mfma_i32_16x16x32_i8 v[124:127], a[110:111], a[22:23], v[124:127]// 00000000480C: D3D7007C 1DF22D6E
	ds_read_b128 a[8:11], v2 offset:4736                       // 000000004814: DBFE1280 08000002
	ds_read_b128 a[12:15], v2 offset:4800                      // 00000000481C: DBFE12C0 0C000002
	v_mfma_i32_16x16x32_i8 v[132:135], a[112:113], a[16:17], v[132:135]// 000000004824: D3D70084 1E122170
	v_mfma_i32_16x16x32_i8 v[132:135], a[114:115], a[18:19], v[132:135]// 00000000482C: D3D70084 1E122572
	buffer_load_dwordx4 a[40:43], v44, s[84:87], 0 offen       // 000000004834: E05C1000 8095282C
	v_mfma_i32_16x16x32_i8 v[132:135], a[116:117], a[20:21], v[132:135]// 00000000483C: D3D70084 1E122974
	v_mfma_i32_16x16x32_i8 v[132:135], a[118:119], a[22:23], v[132:135]// 000000004844: D3D70084 1E122D76
	v_mfma_i32_16x16x32_i8 v[140:143], a[120:121], a[16:17], v[140:143]// 00000000484C: D3D7008C 1E322178
	v_mfma_i32_16x16x32_i8 v[140:143], a[122:123], a[18:19], v[140:143]// 000000004854: D3D7008C 1E32257A
	buffer_load_dwordx4 a[44:47], v44, s[84:87], 0 offen offset:1024// 00000000485C: E05C1400 80952C2C
	v_mfma_i32_16x16x32_i8 v[140:143], a[124:125], a[20:21], v[140:143]// 000000004864: D3D7008C 1E32297C
	v_mfma_i32_16x16x32_i8 v[140:143], a[126:127], a[22:23], v[140:143]// 00000000486C: D3D7008C 1E322D7E
	v_mfma_i32_16x16x32_i8 v[148:151], a[128:129], a[16:17], v[148:151]// 000000004874: D3D70094 1E522180
	v_mfma_i32_16x16x32_i8 v[148:151], a[130:131], a[18:19], v[148:151]// 00000000487C: D3D70094 1E522582
	buffer_load_dwordx4 a[48:51], v45, s[84:87], 0 offen       // 000000004884: E05C1000 8095302D
	v_mfma_i32_16x16x32_i8 v[148:151], a[132:133], a[20:21], v[148:151]// 00000000488C: D3D70094 1E522984
	v_mfma_i32_16x16x32_i8 v[148:151], a[134:135], a[22:23], v[148:151]// 000000004894: D3D70094 1E522D86
	v_mfma_i32_16x16x32_i8 v[156:159], a[136:137], a[16:17], v[156:159]// 00000000489C: D3D7009C 1E722188
	v_mfma_i32_16x16x32_i8 v[156:159], a[138:139], a[18:19], v[156:159]// 0000000048A4: D3D7009C 1E72258A
	buffer_load_dwordx4 a[52:55], v45, s[84:87], 0 offen offset:1024// 0000000048AC: E05C1400 8095342D
	v_mfma_i32_16x16x32_i8 v[156:159], a[140:141], a[20:21], v[156:159]// 0000000048B4: D3D7009C 1E72298C
	v_mfma_i32_16x16x32_i8 v[156:159], a[142:143], a[22:23], v[156:159]// 0000000048BC: D3D7009C 1E722D8E
	v_mfma_i32_16x16x32_i8 v[164:167], a[144:145], a[16:17], v[164:167]// 0000000048C4: D3D700A4 1E922190
	v_mfma_i32_16x16x32_i8 v[164:167], a[146:147], a[18:19], v[164:167]// 0000000048CC: D3D700A4 1E922592
	buffer_load_dwordx4 a[56:59], v46, s[84:87], 0 offen       // 0000000048D4: E05C1000 8095382E
	v_mfma_i32_16x16x32_i8 v[164:167], a[148:149], a[20:21], v[164:167]// 0000000048DC: D3D700A4 1E922994
	v_mfma_i32_16x16x32_i8 v[164:167], a[150:151], a[22:23], v[164:167]// 0000000048E4: D3D700A4 1E922D96
	v_mfma_i32_16x16x32_i8 v[172:175], a[152:153], a[16:17], v[172:175]// 0000000048EC: D3D700AC 1EB22198
	v_mfma_i32_16x16x32_i8 v[172:175], a[154:155], a[18:19], v[172:175]// 0000000048F4: D3D700AC 1EB2259A
	buffer_load_dwordx4 a[60:63], v46, s[84:87], 0 offen offset:1024// 0000000048FC: E05C1400 80953C2E
	v_mfma_i32_16x16x32_i8 v[172:175], a[156:157], a[20:21], v[172:175]// 000000004904: D3D700AC 1EB2299C
	v_mfma_i32_16x16x32_i8 v[172:175], a[158:159], a[22:23], v[172:175]// 00000000490C: D3D700AC 1EB22D9E
	v_mfma_i32_16x16x32_i8 v[120:123], a[96:97], a[24:25], v[120:123]// 000000004914: D3D70078 1DE23160
	v_mfma_i32_16x16x32_i8 v[120:123], a[98:99], a[26:27], v[120:123]// 00000000491C: D3D70078 1DE23562
	buffer_load_dwordx4 a[64:67], v47, s[84:87], 0 offen       // 000000004924: E05C1000 8095402F
	v_mfma_i32_16x16x32_i8 v[120:123], a[100:101], a[28:29], v[120:123]// 00000000492C: D3D70078 1DE23964
	v_mfma_i32_16x16x32_i8 v[120:123], a[102:103], a[30:31], v[120:123]// 000000004934: D3D70078 1DE23D66
	v_mfma_i32_16x16x32_i8 v[128:131], a[104:105], a[24:25], v[128:131]// 00000000493C: D3D70080 1E023168
	v_mfma_i32_16x16x32_i8 v[128:131], a[106:107], a[26:27], v[128:131]// 000000004944: D3D70080 1E02356A
	buffer_load_dwordx4 a[68:71], v47, s[84:87], 0 offen offset:1024// 00000000494C: E05C1400 8095442F
	v_mfma_i32_16x16x32_i8 v[128:131], a[108:109], a[28:29], v[128:131]// 000000004954: D3D70080 1E02396C
	v_mfma_i32_16x16x32_i8 v[128:131], a[110:111], a[30:31], v[128:131]// 00000000495C: D3D70080 1E023D6E
	v_mfma_i32_16x16x32_i8 v[136:139], a[112:113], a[24:25], v[136:139]// 000000004964: D3D70088 1E223170
	v_mfma_i32_16x16x32_i8 v[136:139], a[114:115], a[26:27], v[136:139]// 00000000496C: D3D70088 1E223572
	buffer_load_dwordx4 a[72:75], v48, s[84:87], 0 offen       // 000000004974: E05C1000 80954830
	v_mfma_i32_16x16x32_i8 v[136:139], a[116:117], a[28:29], v[136:139]// 00000000497C: D3D70088 1E223974
	v_mfma_i32_16x16x32_i8 v[136:139], a[118:119], a[30:31], v[136:139]// 000000004984: D3D70088 1E223D76
	v_mfma_i32_16x16x32_i8 v[144:147], a[120:121], a[24:25], v[144:147]// 00000000498C: D3D70090 1E423178
	v_mfma_i32_16x16x32_i8 v[144:147], a[122:123], a[26:27], v[144:147]// 000000004994: D3D70090 1E42357A
	buffer_load_dwordx4 a[76:79], v48, s[84:87], 0 offen offset:1024// 00000000499C: E05C1400 80954C30
	v_mfma_i32_16x16x32_i8 v[144:147], a[124:125], a[28:29], v[144:147]// 0000000049A4: D3D70090 1E42397C
	v_mfma_i32_16x16x32_i8 v[144:147], a[126:127], a[30:31], v[144:147]// 0000000049AC: D3D70090 1E423D7E
	v_mfma_i32_16x16x32_i8 v[152:155], a[128:129], a[24:25], v[152:155]// 0000000049B4: D3D70098 1E623180
	v_mfma_i32_16x16x32_i8 v[152:155], a[130:131], a[26:27], v[152:155]// 0000000049BC: D3D70098 1E623582
	buffer_load_dwordx4 a[80:83], v49, s[84:87], 0 offen       // 0000000049C4: E05C1000 80955031
	v_mfma_i32_16x16x32_i8 v[152:155], a[132:133], a[28:29], v[152:155]// 0000000049CC: D3D70098 1E623984
	v_mfma_i32_16x16x32_i8 v[152:155], a[134:135], a[30:31], v[152:155]// 0000000049D4: D3D70098 1E623D86
	v_mfma_i32_16x16x32_i8 v[160:163], a[136:137], a[24:25], v[160:163]// 0000000049DC: D3D700A0 1E823188
	v_mfma_i32_16x16x32_i8 v[160:163], a[138:139], a[26:27], v[160:163]// 0000000049E4: D3D700A0 1E82358A
	buffer_load_dwordx4 a[84:87], v49, s[84:87], 0 offen offset:1024// 0000000049EC: E05C1400 80955431
	v_mfma_i32_16x16x32_i8 v[160:163], a[140:141], a[28:29], v[160:163]// 0000000049F4: D3D700A0 1E82398C
	v_mfma_i32_16x16x32_i8 v[160:163], a[142:143], a[30:31], v[160:163]// 0000000049FC: D3D700A0 1E823D8E
	v_mfma_i32_16x16x32_i8 v[168:171], a[144:145], a[24:25], v[168:171]// 000000004A04: D3D700A8 1EA23190
	s_add_u32 s60, 0x180, s80                                  // 000000004A0C: 803C50FF 00000180
	s_cmp_lt_u32 s60, s81                                      // 000000004A14: BF0A513C
	s_cselect_b32 s57, s57, 0                                  // 000000004A18: 85398039
	v_mfma_i32_16x16x32_i8 v[168:171], a[146:147], a[26:27], v[168:171]// 000000004A1C: D3D700A8 1EA23592
	buffer_load_dwordx4 a[88:91], v50, s[84:87], 0 offen       // 000000004A24: E05C1000 80955832
	s_add_u32 s60, 0x100, s80                                  // 000000004A2C: 803C50FF 00000100
	s_cmp_lt_u32 s60, s81                                      // 000000004A34: BF0A513C
	s_cselect_b32 s58, s58, 0                                  // 000000004A38: 853A803A
	v_mfma_i32_16x16x32_i8 v[168:171], a[148:149], a[28:29], v[168:171]// 000000004A3C: D3D700A8 1EA23994
	s_add_u32 s60, 0x100, s80                                  // 000000004A44: 803C50FF 00000100
	s_cmp_lt_u32 s60, s81                                      // 000000004A4C: BF0A513C
	s_cselect_b32 s83, s83, 0                                  // 000000004A50: 85538053
	v_mfma_i32_16x16x32_i8 v[168:171], a[150:151], a[30:31], v[168:171]// 000000004A54: D3D700A8 1EA23D96
	s_add_u32 s24, s58, s24                                    // 000000004A5C: 8018183A
	s_addc_u32 s25, 0, s25                                     // 000000004A60: 82191980
	v_mfma_i32_16x16x32_i8 v[176:179], a[152:153], a[24:25], v[176:179]// 000000004A64: D3D700B0 1EC23198
	s_add_u32 s20, s57, s20                                    // 000000004A6C: 80141439
	s_addc_u32 s21, 0, s21                                     // 000000004A70: 82151580
	v_mfma_i32_16x16x32_i8 v[176:179], a[154:155], a[26:27], v[176:179]// 000000004A74: D3D700B0 1EC2359A
	buffer_load_dwordx4 a[92:95], v50, s[84:87], 0 offen offset:1024// 000000004A7C: E05C1400 80955C32
	s_add_u32 s84, s83, s84                                    // 000000004A84: 80545453
	s_addc_u32 s85, 0, s85                                     // 000000004A88: 82555580
	v_mfma_i32_16x16x32_i8 v[176:179], a[156:157], a[28:29], v[176:179]// 000000004A8C: D3D700B0 1EC2399C
	v_mfma_i32_16x16x32_i8 v[176:179], a[158:159], a[30:31], v[176:179]// 000000004A94: D3D700B0 1EC23D9E
	s_addk_i32 s80, 0x80                                       // 000000004A9C: B7500080
	s_cmp_lt_i32 s80, s81                                      // 000000004AA0: BF045150
	s_cbranch_scc0 label_0B09                                  // 000000004AA4: BF8402DF
	s_waitcnt vmcnt(20) lgkmcnt(0)                             // 000000004AA8: BF8C4074
	v_mfma_i32_16x16x32_i8 v[52:55], a[160:161], a[0:1], v[52:55]// 000000004AAC: D3D70034 1CD201A0
	v_mfma_i32_16x16x32_i8 v[52:55], a[162:163], a[2:3], v[52:55]// 000000004AB4: D3D70034 1CD205A2
	buffer_load_dwordx4 a[96:99], v43, s[24:27], 0 offen       // 000000004ABC: E05C1000 8086602B
	v_mfma_i32_16x16x32_i8 v[52:55], a[164:165], a[4:5], v[52:55]// 000000004AC4: D3D70034 1CD209A4
	v_mfma_i32_16x16x32_i8 v[52:55], a[166:167], a[6:7], v[52:55]// 000000004ACC: D3D70034 1CD20DA6
	v_mfma_i32_16x16x32_i8 v[60:63], a[168:169], a[0:1], v[60:63]// 000000004AD4: D3D7003C 1CF201A8
	v_mfma_i32_16x16x32_i8 v[60:63], a[170:171], a[2:3], v[60:63]// 000000004ADC: D3D7003C 1CF205AA
	buffer_load_dwordx4 a[100:103], v43, s[24:27], 0 offen offset:1024// 000000004AE4: E05C1400 8086642B
	v_mfma_i32_16x16x32_i8 v[60:63], a[172:173], a[4:5], v[60:63]// 000000004AEC: D3D7003C 1CF209AC
	v_mfma_i32_16x16x32_i8 v[60:63], a[174:175], a[6:7], v[60:63]// 000000004AF4: D3D7003C 1CF20DAE
	v_mfma_i32_16x16x32_i8 v[68:71], a[176:177], a[0:1], v[68:71]// 000000004AFC: D3D70044 1D1201B0
	v_mfma_i32_16x16x32_i8 v[68:71], a[178:179], a[2:3], v[68:71]// 000000004B04: D3D70044 1D1205B2
	buffer_load_dwordx4 a[104:107], v44, s[24:27], 0 offen     // 000000004B0C: E05C1000 8086682C
	v_mfma_i32_16x16x32_i8 v[68:71], a[180:181], a[4:5], v[68:71]// 000000004B14: D3D70044 1D1209B4
	v_mfma_i32_16x16x32_i8 v[68:71], a[182:183], a[6:7], v[68:71]// 000000004B1C: D3D70044 1D120DB6
	v_mfma_i32_16x16x32_i8 v[76:79], a[184:185], a[0:1], v[76:79]// 000000004B24: D3D7004C 1D3201B8
	v_mfma_i32_16x16x32_i8 v[76:79], a[186:187], a[2:3], v[76:79]// 000000004B2C: D3D7004C 1D3205BA
	buffer_load_dwordx4 a[108:111], v44, s[24:27], 0 offen offset:1024// 000000004B34: E05C1400 80866C2C
	v_mfma_i32_16x16x32_i8 v[76:79], a[188:189], a[4:5], v[76:79]// 000000004B3C: D3D7004C 1D3209BC
	v_mfma_i32_16x16x32_i8 v[76:79], a[190:191], a[6:7], v[76:79]// 000000004B44: D3D7004C 1D320DBE
	v_mfma_i32_16x16x32_i8 v[84:87], a[192:193], a[0:1], v[84:87]// 000000004B4C: D3D70054 1D5201C0
	v_mfma_i32_16x16x32_i8 v[84:87], a[194:195], a[2:3], v[84:87]// 000000004B54: D3D70054 1D5205C2
	buffer_load_dwordx4 a[112:115], v45, s[24:27], 0 offen     // 000000004B5C: E05C1000 8086702D
	v_mfma_i32_16x16x32_i8 v[84:87], a[196:197], a[4:5], v[84:87]// 000000004B64: D3D70054 1D5209C4
	v_mfma_i32_16x16x32_i8 v[84:87], a[198:199], a[6:7], v[84:87]// 000000004B6C: D3D70054 1D520DC6
	v_mfma_i32_16x16x32_i8 v[92:95], a[200:201], a[0:1], v[92:95]// 000000004B74: D3D7005C 1D7201C8
	v_mfma_i32_16x16x32_i8 v[92:95], a[202:203], a[2:3], v[92:95]// 000000004B7C: D3D7005C 1D7205CA
	buffer_load_dwordx4 a[116:119], v45, s[24:27], 0 offen offset:1024// 000000004B84: E05C1400 8086742D
	v_mfma_i32_16x16x32_i8 v[92:95], a[204:205], a[4:5], v[92:95]// 000000004B8C: D3D7005C 1D7209CC
	v_mfma_i32_16x16x32_i8 v[92:95], a[206:207], a[6:7], v[92:95]// 000000004B94: D3D7005C 1D720DCE
	v_mfma_i32_16x16x32_i8 v[100:103], a[208:209], a[0:1], v[100:103]// 000000004B9C: D3D70064 1D9201D0
	v_mfma_i32_16x16x32_i8 v[100:103], a[210:211], a[2:3], v[100:103]// 000000004BA4: D3D70064 1D9205D2
	buffer_load_dwordx4 a[120:123], v46, s[24:27], 0 offen     // 000000004BAC: E05C1000 8086782E
	v_mfma_i32_16x16x32_i8 v[100:103], a[212:213], a[4:5], v[100:103]// 000000004BB4: D3D70064 1D9209D4
	v_mfma_i32_16x16x32_i8 v[100:103], a[214:215], a[6:7], v[100:103]// 000000004BBC: D3D70064 1D920DD6
	v_mfma_i32_16x16x32_i8 v[108:111], a[216:217], a[0:1], v[108:111]// 000000004BC4: D3D7006C 1DB201D8
	v_mfma_i32_16x16x32_i8 v[108:111], a[218:219], a[2:3], v[108:111]// 000000004BCC: D3D7006C 1DB205DA
	buffer_load_dwordx4 a[124:127], v46, s[24:27], 0 offen offset:1024// 000000004BD4: E05C1400 80867C2E
	v_mfma_i32_16x16x32_i8 v[108:111], a[220:221], a[4:5], v[108:111]// 000000004BDC: D3D7006C 1DB209DC
	v_mfma_i32_16x16x32_i8 v[108:111], a[222:223], a[6:7], v[108:111]// 000000004BE4: D3D7006C 1DB20DDE
	v_mfma_i32_16x16x32_i8 v[56:59], a[160:161], a[8:9], v[56:59]// 000000004BEC: D3D70038 1CE211A0
	v_mfma_i32_16x16x32_i8 v[56:59], a[162:163], a[10:11], v[56:59]// 000000004BF4: D3D70038 1CE215A2
	buffer_load_dwordx4 a[128:131], v47, s[24:27], 0 offen     // 000000004BFC: E05C1000 8086802F
	v_mfma_i32_16x16x32_i8 v[56:59], a[164:165], a[12:13], v[56:59]// 000000004C04: D3D70038 1CE219A4
	v_mfma_i32_16x16x32_i8 v[56:59], a[166:167], a[14:15], v[56:59]// 000000004C0C: D3D70038 1CE21DA6
	v_mfma_i32_16x16x32_i8 v[64:67], a[168:169], a[8:9], v[64:67]// 000000004C14: D3D70040 1D0211A8
	v_mfma_i32_16x16x32_i8 v[64:67], a[170:171], a[10:11], v[64:67]// 000000004C1C: D3D70040 1D0215AA
	buffer_load_dwordx4 a[132:135], v47, s[24:27], 0 offen offset:1024// 000000004C24: E05C1400 8086842F
	v_mfma_i32_16x16x32_i8 v[64:67], a[172:173], a[12:13], v[64:67]// 000000004C2C: D3D70040 1D0219AC
	v_mfma_i32_16x16x32_i8 v[64:67], a[174:175], a[14:15], v[64:67]// 000000004C34: D3D70040 1D021DAE
	v_mfma_i32_16x16x32_i8 v[72:75], a[176:177], a[8:9], v[72:75]// 000000004C3C: D3D70048 1D2211B0
	v_mfma_i32_16x16x32_i8 v[72:75], a[178:179], a[10:11], v[72:75]// 000000004C44: D3D70048 1D2215B2
	buffer_load_dwordx4 a[136:139], v48, s[24:27], 0 offen     // 000000004C4C: E05C1000 80868830
	v_mfma_i32_16x16x32_i8 v[72:75], a[180:181], a[12:13], v[72:75]// 000000004C54: D3D70048 1D2219B4
	v_mfma_i32_16x16x32_i8 v[72:75], a[182:183], a[14:15], v[72:75]// 000000004C5C: D3D70048 1D221DB6
	v_mfma_i32_16x16x32_i8 v[80:83], a[184:185], a[8:9], v[80:83]// 000000004C64: D3D70050 1D4211B8
	v_mfma_i32_16x16x32_i8 v[80:83], a[186:187], a[10:11], v[80:83]// 000000004C6C: D3D70050 1D4215BA
	buffer_load_dwordx4 a[140:143], v48, s[24:27], 0 offen offset:1024// 000000004C74: E05C1400 80868C30
	v_mfma_i32_16x16x32_i8 v[80:83], a[188:189], a[12:13], v[80:83]// 000000004C7C: D3D70050 1D4219BC
	v_mfma_i32_16x16x32_i8 v[80:83], a[190:191], a[14:15], v[80:83]// 000000004C84: D3D70050 1D421DBE
	v_mfma_i32_16x16x32_i8 v[88:91], a[192:193], a[8:9], v[88:91]// 000000004C8C: D3D70058 1D6211C0
	v_mfma_i32_16x16x32_i8 v[88:91], a[194:195], a[10:11], v[88:91]// 000000004C94: D3D70058 1D6215C2
	buffer_load_dwordx4 a[144:147], v49, s[24:27], 0 offen     // 000000004C9C: E05C1000 80869031
	v_mfma_i32_16x16x32_i8 v[88:91], a[196:197], a[12:13], v[88:91]// 000000004CA4: D3D70058 1D6219C4
	v_mfma_i32_16x16x32_i8 v[88:91], a[198:199], a[14:15], v[88:91]// 000000004CAC: D3D70058 1D621DC6
	v_mfma_i32_16x16x32_i8 v[96:99], a[200:201], a[8:9], v[96:99]// 000000004CB4: D3D70060 1D8211C8
	v_mfma_i32_16x16x32_i8 v[96:99], a[202:203], a[10:11], v[96:99]// 000000004CBC: D3D70060 1D8215CA
	buffer_load_dwordx4 a[148:151], v49, s[24:27], 0 offen offset:1024// 000000004CC4: E05C1400 80869431
	v_mfma_i32_16x16x32_i8 v[96:99], a[204:205], a[12:13], v[96:99]// 000000004CCC: D3D70060 1D8219CC
	v_mfma_i32_16x16x32_i8 v[96:99], a[206:207], a[14:15], v[96:99]// 000000004CD4: D3D70060 1D821DCE
	v_mfma_i32_16x16x32_i8 v[104:107], a[208:209], a[8:9], v[104:107]// 000000004CDC: D3D70068 1DA211D0
	v_mfma_i32_16x16x32_i8 v[104:107], a[210:211], a[10:11], v[104:107]// 000000004CE4: D3D70068 1DA215D2
	buffer_load_dwordx4 a[152:155], v50, s[24:27], 0 offen     // 000000004CEC: E05C1000 80869832
	v_mfma_i32_16x16x32_i8 v[104:107], a[212:213], a[12:13], v[104:107]// 000000004CF4: D3D70068 1DA219D4
	v_mfma_i32_16x16x32_i8 v[104:107], a[214:215], a[14:15], v[104:107]// 000000004CFC: D3D70068 1DA21DD6
	v_mfma_i32_16x16x32_i8 v[112:115], a[216:217], a[8:9], v[112:115]// 000000004D04: D3D70070 1DC211D8
	v_mfma_i32_16x16x32_i8 v[112:115], a[218:219], a[10:11], v[112:115]// 000000004D0C: D3D70070 1DC215DA
	buffer_load_dwordx4 a[156:159], v50, s[24:27], 0 offen offset:1024// 000000004D14: E05C1400 80869C32
	buffer_load_dword v39, s[20:23], 0 offen lds               // 000000004D1C: E0511000 80050027
	s_add_u32 m0, 0x100, s48                                   // 000000004D24: 807C30FF 00000100
	v_mfma_i32_16x16x32_i8 v[112:115], a[220:221], a[12:13], v[112:115]// 000000004D2C: D3D70070 1DC219DC
	v_mfma_i32_16x16x32_i8 v[112:115], a[222:223], a[14:15], v[112:115]// 000000004D34: D3D70070 1DC21DDE
	buffer_load_dword v40, s[20:23], 0 offen lds               // 000000004D3C: E0511000 80050028
	s_add_u32 m0, 0x200, s48                                   // 000000004D44: 807C30FF 00000200
	buffer_load_dword v41, s[20:23], 0 offen lds               // 000000004D4C: E0511000 80050029
	s_add_u32 m0, 0x300, s48                                   // 000000004D54: 807C30FF 00000300
	buffer_load_dword v42, s[20:23], 0 offen lds               // 000000004D5C: E0511000 8005002A
	s_add_u32 m0, 0, s49                                       // 000000004D64: 807C3180
	s_waitcnt vmcnt(20)                                        // 000000004D68: BF8C4F74
	s_barrier                                                  // 000000004D6C: BF8A0000
	v_mfma_i32_16x16x32_i8 v[116:119], a[32:33], a[0:1], v[116:119]// 000000004D70: D3D70074 1DD20120
	v_mfma_i32_16x16x32_i8 v[116:119], a[34:35], a[2:3], v[116:119]// 000000004D78: D3D70074 1DD20522
	buffer_load_dwordx4 a[160:163], v43, s[84:87], 0 offen     // 000000004D80: E05C1000 8095A02B
	v_mfma_i32_16x16x32_i8 v[116:119], a[36:37], a[4:5], v[116:119]// 000000004D88: D3D70074 1DD20924
	v_mfma_i32_16x16x32_i8 v[116:119], a[38:39], a[6:7], v[116:119]// 000000004D90: D3D70074 1DD20D26
	ds_read_b128 a[16:19], v2 offset:8448                      // 000000004D98: DBFE2100 10000002
	ds_read_b128 a[20:23], v2 offset:8512                      // 000000004DA0: DBFE2140 14000002
	v_mfma_i32_16x16x32_i8 v[124:127], a[40:41], a[0:1], v[124:127]// 000000004DA8: D3D7007C 1DF20128
	v_mfma_i32_16x16x32_i8 v[124:127], a[42:43], a[2:3], v[124:127]// 000000004DB0: D3D7007C 1DF2052A
	buffer_load_dwordx4 a[164:167], v43, s[84:87], 0 offen offset:1024// 000000004DB8: E05C1400 8095A42B
	v_mfma_i32_16x16x32_i8 v[124:127], a[44:45], a[4:5], v[124:127]// 000000004DC0: D3D7007C 1DF2092C
	v_mfma_i32_16x16x32_i8 v[124:127], a[46:47], a[6:7], v[124:127]// 000000004DC8: D3D7007C 1DF20D2E
	ds_read_b128 a[24:27], v2 offset:8960                      // 000000004DD0: DBFE2300 18000002
	ds_read_b128 a[28:31], v2 offset:9024                      // 000000004DD8: DBFE2340 1C000002
	v_mfma_i32_16x16x32_i8 v[132:135], a[48:49], a[0:1], v[132:135]// 000000004DE0: D3D70084 1E120130
	v_mfma_i32_16x16x32_i8 v[132:135], a[50:51], a[2:3], v[132:135]// 000000004DE8: D3D70084 1E120532
	buffer_load_dwordx4 a[168:171], v44, s[84:87], 0 offen     // 000000004DF0: E05C1000 8095A82C
	v_mfma_i32_16x16x32_i8 v[132:135], a[52:53], a[4:5], v[132:135]// 000000004DF8: D3D70084 1E120934
	v_mfma_i32_16x16x32_i8 v[132:135], a[54:55], a[6:7], v[132:135]// 000000004E00: D3D70084 1E120D36
	v_mfma_i32_16x16x32_i8 v[140:143], a[56:57], a[0:1], v[140:143]// 000000004E08: D3D7008C 1E320138
	v_mfma_i32_16x16x32_i8 v[140:143], a[58:59], a[2:3], v[140:143]// 000000004E10: D3D7008C 1E32053A
	buffer_load_dwordx4 a[172:175], v44, s[84:87], 0 offen offset:1024// 000000004E18: E05C1400 8095AC2C
	v_mfma_i32_16x16x32_i8 v[140:143], a[60:61], a[4:5], v[140:143]// 000000004E20: D3D7008C 1E32093C
	v_mfma_i32_16x16x32_i8 v[140:143], a[62:63], a[6:7], v[140:143]// 000000004E28: D3D7008C 1E320D3E
	v_mfma_i32_16x16x32_i8 v[148:151], a[64:65], a[0:1], v[148:151]// 000000004E30: D3D70094 1E520140
	v_mfma_i32_16x16x32_i8 v[148:151], a[66:67], a[2:3], v[148:151]// 000000004E38: D3D70094 1E520542
	buffer_load_dwordx4 a[176:179], v45, s[84:87], 0 offen     // 000000004E40: E05C1000 8095B02D
	v_mfma_i32_16x16x32_i8 v[148:151], a[68:69], a[4:5], v[148:151]// 000000004E48: D3D70094 1E520944
	v_mfma_i32_16x16x32_i8 v[148:151], a[70:71], a[6:7], v[148:151]// 000000004E50: D3D70094 1E520D46
	v_mfma_i32_16x16x32_i8 v[156:159], a[72:73], a[0:1], v[156:159]// 000000004E58: D3D7009C 1E720148
	v_mfma_i32_16x16x32_i8 v[156:159], a[74:75], a[2:3], v[156:159]// 000000004E60: D3D7009C 1E72054A
	buffer_load_dwordx4 a[180:183], v45, s[84:87], 0 offen offset:1024// 000000004E68: E05C1400 8095B42D
	v_mfma_i32_16x16x32_i8 v[156:159], a[76:77], a[4:5], v[156:159]// 000000004E70: D3D7009C 1E72094C
	v_mfma_i32_16x16x32_i8 v[156:159], a[78:79], a[6:7], v[156:159]// 000000004E78: D3D7009C 1E720D4E
	v_mfma_i32_16x16x32_i8 v[164:167], a[80:81], a[0:1], v[164:167]// 000000004E80: D3D700A4 1E920150
	v_mfma_i32_16x16x32_i8 v[164:167], a[82:83], a[2:3], v[164:167]// 000000004E88: D3D700A4 1E920552
	buffer_load_dwordx4 a[184:187], v46, s[84:87], 0 offen     // 000000004E90: E05C1000 8095B82E
	v_mfma_i32_16x16x32_i8 v[164:167], a[84:85], a[4:5], v[164:167]// 000000004E98: D3D700A4 1E920954
	v_mfma_i32_16x16x32_i8 v[164:167], a[86:87], a[6:7], v[164:167]// 000000004EA0: D3D700A4 1E920D56
	v_mfma_i32_16x16x32_i8 v[172:175], a[88:89], a[0:1], v[172:175]// 000000004EA8: D3D700AC 1EB20158
	v_mfma_i32_16x16x32_i8 v[172:175], a[90:91], a[2:3], v[172:175]// 000000004EB0: D3D700AC 1EB2055A
	buffer_load_dwordx4 a[188:191], v46, s[84:87], 0 offen offset:1024// 000000004EB8: E05C1400 8095BC2E
	v_mfma_i32_16x16x32_i8 v[172:175], a[92:93], a[4:5], v[172:175]// 000000004EC0: D3D700AC 1EB2095C
	v_mfma_i32_16x16x32_i8 v[172:175], a[94:95], a[6:7], v[172:175]// 000000004EC8: D3D700AC 1EB20D5E
	v_mfma_i32_16x16x32_i8 v[120:123], a[32:33], a[8:9], v[120:123]// 000000004ED0: D3D70078 1DE21120
	v_mfma_i32_16x16x32_i8 v[120:123], a[34:35], a[10:11], v[120:123]// 000000004ED8: D3D70078 1DE21522
	buffer_load_dwordx4 a[192:195], v47, s[84:87], 0 offen     // 000000004EE0: E05C1000 8095C02F
	v_mfma_i32_16x16x32_i8 v[120:123], a[36:37], a[12:13], v[120:123]// 000000004EE8: D3D70078 1DE21924
	v_mfma_i32_16x16x32_i8 v[120:123], a[38:39], a[14:15], v[120:123]// 000000004EF0: D3D70078 1DE21D26
	v_mfma_i32_16x16x32_i8 v[128:131], a[40:41], a[8:9], v[128:131]// 000000004EF8: D3D70080 1E021128
	v_mfma_i32_16x16x32_i8 v[128:131], a[42:43], a[10:11], v[128:131]// 000000004F00: D3D70080 1E02152A
	buffer_load_dwordx4 a[196:199], v47, s[84:87], 0 offen offset:1024// 000000004F08: E05C1400 8095C42F
	v_mfma_i32_16x16x32_i8 v[128:131], a[44:45], a[12:13], v[128:131]// 000000004F10: D3D70080 1E02192C
	v_mfma_i32_16x16x32_i8 v[128:131], a[46:47], a[14:15], v[128:131]// 000000004F18: D3D70080 1E021D2E
	v_mfma_i32_16x16x32_i8 v[136:139], a[48:49], a[8:9], v[136:139]// 000000004F20: D3D70088 1E221130
	v_mfma_i32_16x16x32_i8 v[136:139], a[50:51], a[10:11], v[136:139]// 000000004F28: D3D70088 1E221532
	buffer_load_dwordx4 a[200:203], v48, s[84:87], 0 offen     // 000000004F30: E05C1000 8095C830
	v_mfma_i32_16x16x32_i8 v[136:139], a[52:53], a[12:13], v[136:139]// 000000004F38: D3D70088 1E221934
	v_mfma_i32_16x16x32_i8 v[136:139], a[54:55], a[14:15], v[136:139]// 000000004F40: D3D70088 1E221D36
	v_mfma_i32_16x16x32_i8 v[144:147], a[56:57], a[8:9], v[144:147]// 000000004F48: D3D70090 1E421138
	v_mfma_i32_16x16x32_i8 v[144:147], a[58:59], a[10:11], v[144:147]// 000000004F50: D3D70090 1E42153A
	buffer_load_dwordx4 a[204:207], v48, s[84:87], 0 offen offset:1024// 000000004F58: E05C1400 8095CC30
	v_mfma_i32_16x16x32_i8 v[144:147], a[60:61], a[12:13], v[144:147]// 000000004F60: D3D70090 1E42193C
	v_mfma_i32_16x16x32_i8 v[144:147], a[62:63], a[14:15], v[144:147]// 000000004F68: D3D70090 1E421D3E
	v_mfma_i32_16x16x32_i8 v[152:155], a[64:65], a[8:9], v[152:155]// 000000004F70: D3D70098 1E621140
	v_mfma_i32_16x16x32_i8 v[152:155], a[66:67], a[10:11], v[152:155]// 000000004F78: D3D70098 1E621542
	buffer_load_dwordx4 a[208:211], v49, s[84:87], 0 offen     // 000000004F80: E05C1000 8095D031
	v_mfma_i32_16x16x32_i8 v[152:155], a[68:69], a[12:13], v[152:155]// 000000004F88: D3D70098 1E621944
	v_mfma_i32_16x16x32_i8 v[152:155], a[70:71], a[14:15], v[152:155]// 000000004F90: D3D70098 1E621D46
	v_mfma_i32_16x16x32_i8 v[160:163], a[72:73], a[8:9], v[160:163]// 000000004F98: D3D700A0 1E821148
	v_mfma_i32_16x16x32_i8 v[160:163], a[74:75], a[10:11], v[160:163]// 000000004FA0: D3D700A0 1E82154A
	buffer_load_dwordx4 a[212:215], v49, s[84:87], 0 offen offset:1024// 000000004FA8: E05C1400 8095D431
	v_mfma_i32_16x16x32_i8 v[160:163], a[76:77], a[12:13], v[160:163]// 000000004FB0: D3D700A0 1E82194C
	v_mfma_i32_16x16x32_i8 v[160:163], a[78:79], a[14:15], v[160:163]// 000000004FB8: D3D700A0 1E821D4E
	v_mfma_i32_16x16x32_i8 v[168:171], a[80:81], a[8:9], v[168:171]// 000000004FC0: D3D700A8 1EA21150
	s_add_u32 s60, 0x180, s80                                  // 000000004FC8: 803C50FF 00000180
	s_cmp_lt_u32 s60, s81                                      // 000000004FD0: BF0A513C
	s_cselect_b32 s57, s57, 0                                  // 000000004FD4: 85398039
	v_mfma_i32_16x16x32_i8 v[168:171], a[82:83], a[10:11], v[168:171]// 000000004FD8: D3D700A8 1EA21552
	buffer_load_dwordx4 a[216:219], v50, s[84:87], 0 offen     // 000000004FE0: E05C1000 8095D832
	s_add_u32 s60, 0x100, s80                                  // 000000004FE8: 803C50FF 00000100
	s_cmp_lt_u32 s60, s81                                      // 000000004FF0: BF0A513C
	s_cselect_b32 s58, s58, 0                                  // 000000004FF4: 853A803A
	v_mfma_i32_16x16x32_i8 v[168:171], a[84:85], a[12:13], v[168:171]// 000000004FF8: D3D700A8 1EA21954
	s_add_u32 s60, 0x100, s80                                  // 000000005000: 803C50FF 00000100
	s_cmp_lt_u32 s60, s81                                      // 000000005008: BF0A513C
	s_cselect_b32 s83, s83, 0                                  // 00000000500C: 85538053
	v_mfma_i32_16x16x32_i8 v[168:171], a[86:87], a[14:15], v[168:171]// 000000005010: D3D700A8 1EA21D56
	s_add_u32 s24, s58, s24                                    // 000000005018: 8018183A
	s_addc_u32 s25, 0, s25                                     // 00000000501C: 82191980
	v_mfma_i32_16x16x32_i8 v[176:179], a[88:89], a[8:9], v[176:179]// 000000005020: D3D700B0 1EC21158
	s_add_u32 s20, s57, s20                                    // 000000005028: 80141439
	s_addc_u32 s21, 0, s21                                     // 00000000502C: 82151580
	v_mfma_i32_16x16x32_i8 v[176:179], a[90:91], a[10:11], v[176:179]// 000000005030: D3D700B0 1EC2155A
	buffer_load_dwordx4 a[220:223], v50, s[84:87], 0 offen offset:1024// 000000005038: E05C1400 8095DC32
	s_add_u32 s84, s83, s84                                    // 000000005040: 80545453
	s_addc_u32 s85, 0, s85                                     // 000000005044: 82555580
	v_mfma_i32_16x16x32_i8 v[176:179], a[92:93], a[12:13], v[176:179]// 000000005048: D3D700B0 1EC2195C
	v_mfma_i32_16x16x32_i8 v[176:179], a[94:95], a[14:15], v[176:179]// 000000005050: D3D700B0 1EC21D5E
	s_addk_i32 s80, 0x80                                       // 000000005058: B7500080
	s_cmp_lt_i32 s80, s81                                      // 00000000505C: BF045150
	s_cbranch_scc0 label_0B09                                  // 000000005060: BF840170
	s_waitcnt vmcnt(20) lgkmcnt(0)                             // 000000005064: BF8C4074
	v_mfma_i32_16x16x32_i8 v[52:55], a[96:97], a[16:17], v[52:55]// 000000005068: D3D70034 1CD22160
	v_mfma_i32_16x16x32_i8 v[52:55], a[98:99], a[18:19], v[52:55]// 000000005070: D3D70034 1CD22562
	buffer_load_dwordx4 a[32:35], v43, s[24:27], 0 offen       // 000000005078: E05C1000 8086202B
	v_mfma_i32_16x16x32_i8 v[52:55], a[100:101], a[20:21], v[52:55]// 000000005080: D3D70034 1CD22964
	v_mfma_i32_16x16x32_i8 v[52:55], a[102:103], a[22:23], v[52:55]// 000000005088: D3D70034 1CD22D66
	v_mfma_i32_16x16x32_i8 v[60:63], a[104:105], a[16:17], v[60:63]// 000000005090: D3D7003C 1CF22168
	v_mfma_i32_16x16x32_i8 v[60:63], a[106:107], a[18:19], v[60:63]// 000000005098: D3D7003C 1CF2256A
	buffer_load_dwordx4 a[36:39], v43, s[24:27], 0 offen offset:1024// 0000000050A0: E05C1400 8086242B
	v_mfma_i32_16x16x32_i8 v[60:63], a[108:109], a[20:21], v[60:63]// 0000000050A8: D3D7003C 1CF2296C
	v_mfma_i32_16x16x32_i8 v[60:63], a[110:111], a[22:23], v[60:63]// 0000000050B0: D3D7003C 1CF22D6E
	v_mfma_i32_16x16x32_i8 v[68:71], a[112:113], a[16:17], v[68:71]// 0000000050B8: D3D70044 1D122170
	v_mfma_i32_16x16x32_i8 v[68:71], a[114:115], a[18:19], v[68:71]// 0000000050C0: D3D70044 1D122572
	buffer_load_dwordx4 a[40:43], v44, s[24:27], 0 offen       // 0000000050C8: E05C1000 8086282C
	v_mfma_i32_16x16x32_i8 v[68:71], a[116:117], a[20:21], v[68:71]// 0000000050D0: D3D70044 1D122974
	v_mfma_i32_16x16x32_i8 v[68:71], a[118:119], a[22:23], v[68:71]// 0000000050D8: D3D70044 1D122D76
	v_mfma_i32_16x16x32_i8 v[76:79], a[120:121], a[16:17], v[76:79]// 0000000050E0: D3D7004C 1D322178
	v_mfma_i32_16x16x32_i8 v[76:79], a[122:123], a[18:19], v[76:79]// 0000000050E8: D3D7004C 1D32257A
	buffer_load_dwordx4 a[44:47], v44, s[24:27], 0 offen offset:1024// 0000000050F0: E05C1400 80862C2C
	v_mfma_i32_16x16x32_i8 v[76:79], a[124:125], a[20:21], v[76:79]// 0000000050F8: D3D7004C 1D32297C
	v_mfma_i32_16x16x32_i8 v[76:79], a[126:127], a[22:23], v[76:79]// 000000005100: D3D7004C 1D322D7E
	v_mfma_i32_16x16x32_i8 v[84:87], a[128:129], a[16:17], v[84:87]// 000000005108: D3D70054 1D522180
	v_mfma_i32_16x16x32_i8 v[84:87], a[130:131], a[18:19], v[84:87]// 000000005110: D3D70054 1D522582
	buffer_load_dwordx4 a[48:51], v45, s[24:27], 0 offen       // 000000005118: E05C1000 8086302D
	v_mfma_i32_16x16x32_i8 v[84:87], a[132:133], a[20:21], v[84:87]// 000000005120: D3D70054 1D522984
	v_mfma_i32_16x16x32_i8 v[84:87], a[134:135], a[22:23], v[84:87]// 000000005128: D3D70054 1D522D86
	v_mfma_i32_16x16x32_i8 v[92:95], a[136:137], a[16:17], v[92:95]// 000000005130: D3D7005C 1D722188
	v_mfma_i32_16x16x32_i8 v[92:95], a[138:139], a[18:19], v[92:95]// 000000005138: D3D7005C 1D72258A
	buffer_load_dwordx4 a[52:55], v45, s[24:27], 0 offen offset:1024// 000000005140: E05C1400 8086342D
	v_mfma_i32_16x16x32_i8 v[92:95], a[140:141], a[20:21], v[92:95]// 000000005148: D3D7005C 1D72298C
	v_mfma_i32_16x16x32_i8 v[92:95], a[142:143], a[22:23], v[92:95]// 000000005150: D3D7005C 1D722D8E
	v_mfma_i32_16x16x32_i8 v[100:103], a[144:145], a[16:17], v[100:103]// 000000005158: D3D70064 1D922190
	v_mfma_i32_16x16x32_i8 v[100:103], a[146:147], a[18:19], v[100:103]// 000000005160: D3D70064 1D922592
	buffer_load_dwordx4 a[56:59], v46, s[24:27], 0 offen       // 000000005168: E05C1000 8086382E
	v_mfma_i32_16x16x32_i8 v[100:103], a[148:149], a[20:21], v[100:103]// 000000005170: D3D70064 1D922994
	v_mfma_i32_16x16x32_i8 v[100:103], a[150:151], a[22:23], v[100:103]// 000000005178: D3D70064 1D922D96
	v_mfma_i32_16x16x32_i8 v[108:111], a[152:153], a[16:17], v[108:111]// 000000005180: D3D7006C 1DB22198
	v_mfma_i32_16x16x32_i8 v[108:111], a[154:155], a[18:19], v[108:111]// 000000005188: D3D7006C 1DB2259A
	buffer_load_dwordx4 a[60:63], v46, s[24:27], 0 offen offset:1024// 000000005190: E05C1400 80863C2E
	v_mfma_i32_16x16x32_i8 v[108:111], a[156:157], a[20:21], v[108:111]// 000000005198: D3D7006C 1DB2299C
	v_mfma_i32_16x16x32_i8 v[108:111], a[158:159], a[22:23], v[108:111]// 0000000051A0: D3D7006C 1DB22D9E
	v_mfma_i32_16x16x32_i8 v[56:59], a[96:97], a[24:25], v[56:59]// 0000000051A8: D3D70038 1CE23160
	v_mfma_i32_16x16x32_i8 v[56:59], a[98:99], a[26:27], v[56:59]// 0000000051B0: D3D70038 1CE23562
	buffer_load_dwordx4 a[64:67], v47, s[24:27], 0 offen       // 0000000051B8: E05C1000 8086402F
	v_mfma_i32_16x16x32_i8 v[56:59], a[100:101], a[28:29], v[56:59]// 0000000051C0: D3D70038 1CE23964
	v_mfma_i32_16x16x32_i8 v[56:59], a[102:103], a[30:31], v[56:59]// 0000000051C8: D3D70038 1CE23D66
	v_mfma_i32_16x16x32_i8 v[64:67], a[104:105], a[24:25], v[64:67]// 0000000051D0: D3D70040 1D023168
	v_mfma_i32_16x16x32_i8 v[64:67], a[106:107], a[26:27], v[64:67]// 0000000051D8: D3D70040 1D02356A
	buffer_load_dwordx4 a[68:71], v47, s[24:27], 0 offen offset:1024// 0000000051E0: E05C1400 8086442F
	v_mfma_i32_16x16x32_i8 v[64:67], a[108:109], a[28:29], v[64:67]// 0000000051E8: D3D70040 1D02396C
	v_mfma_i32_16x16x32_i8 v[64:67], a[110:111], a[30:31], v[64:67]// 0000000051F0: D3D70040 1D023D6E
	v_mfma_i32_16x16x32_i8 v[72:75], a[112:113], a[24:25], v[72:75]// 0000000051F8: D3D70048 1D223170
	v_mfma_i32_16x16x32_i8 v[72:75], a[114:115], a[26:27], v[72:75]// 000000005200: D3D70048 1D223572
	buffer_load_dwordx4 a[72:75], v48, s[24:27], 0 offen       // 000000005208: E05C1000 80864830
	v_mfma_i32_16x16x32_i8 v[72:75], a[116:117], a[28:29], v[72:75]// 000000005210: D3D70048 1D223974
	v_mfma_i32_16x16x32_i8 v[72:75], a[118:119], a[30:31], v[72:75]// 000000005218: D3D70048 1D223D76
	v_mfma_i32_16x16x32_i8 v[80:83], a[120:121], a[24:25], v[80:83]// 000000005220: D3D70050 1D423178
	v_mfma_i32_16x16x32_i8 v[80:83], a[122:123], a[26:27], v[80:83]// 000000005228: D3D70050 1D42357A
	buffer_load_dwordx4 a[76:79], v48, s[24:27], 0 offen offset:1024// 000000005230: E05C1400 80864C30
	v_mfma_i32_16x16x32_i8 v[80:83], a[124:125], a[28:29], v[80:83]// 000000005238: D3D70050 1D42397C
	v_mfma_i32_16x16x32_i8 v[80:83], a[126:127], a[30:31], v[80:83]// 000000005240: D3D70050 1D423D7E
	v_mfma_i32_16x16x32_i8 v[88:91], a[128:129], a[24:25], v[88:91]// 000000005248: D3D70058 1D623180
	v_mfma_i32_16x16x32_i8 v[88:91], a[130:131], a[26:27], v[88:91]// 000000005250: D3D70058 1D623582
	buffer_load_dwordx4 a[80:83], v49, s[24:27], 0 offen       // 000000005258: E05C1000 80865031
	v_mfma_i32_16x16x32_i8 v[88:91], a[132:133], a[28:29], v[88:91]// 000000005260: D3D70058 1D623984
	v_mfma_i32_16x16x32_i8 v[88:91], a[134:135], a[30:31], v[88:91]// 000000005268: D3D70058 1D623D86
	v_mfma_i32_16x16x32_i8 v[96:99], a[136:137], a[24:25], v[96:99]// 000000005270: D3D70060 1D823188
	v_mfma_i32_16x16x32_i8 v[96:99], a[138:139], a[26:27], v[96:99]// 000000005278: D3D70060 1D82358A
	buffer_load_dwordx4 a[84:87], v49, s[24:27], 0 offen offset:1024// 000000005280: E05C1400 80865431
	v_mfma_i32_16x16x32_i8 v[96:99], a[140:141], a[28:29], v[96:99]// 000000005288: D3D70060 1D82398C
	v_mfma_i32_16x16x32_i8 v[96:99], a[142:143], a[30:31], v[96:99]// 000000005290: D3D70060 1D823D8E
	v_mfma_i32_16x16x32_i8 v[104:107], a[144:145], a[24:25], v[104:107]// 000000005298: D3D70068 1DA23190
	v_mfma_i32_16x16x32_i8 v[104:107], a[146:147], a[26:27], v[104:107]// 0000000052A0: D3D70068 1DA23592
	buffer_load_dwordx4 a[88:91], v50, s[24:27], 0 offen       // 0000000052A8: E05C1000 80865832
	v_mfma_i32_16x16x32_i8 v[104:107], a[148:149], a[28:29], v[104:107]// 0000000052B0: D3D70068 1DA23994
	v_mfma_i32_16x16x32_i8 v[104:107], a[150:151], a[30:31], v[104:107]// 0000000052B8: D3D70068 1DA23D96
	v_mfma_i32_16x16x32_i8 v[112:115], a[152:153], a[24:25], v[112:115]// 0000000052C0: D3D70070 1DC23198
	v_mfma_i32_16x16x32_i8 v[112:115], a[154:155], a[26:27], v[112:115]// 0000000052C8: D3D70070 1DC2359A
	buffer_load_dwordx4 a[92:95], v50, s[24:27], 0 offen offset:1024// 0000000052D0: E05C1400 80865C32
	buffer_load_dword v39, s[20:23], 0 offen lds               // 0000000052D8: E0511000 80050027
	s_add_u32 m0, 0x100, s49                                   // 0000000052E0: 807C31FF 00000100
	v_mfma_i32_16x16x32_i8 v[112:115], a[156:157], a[28:29], v[112:115]// 0000000052E8: D3D70070 1DC2399C
	v_mfma_i32_16x16x32_i8 v[112:115], a[158:159], a[30:31], v[112:115]// 0000000052F0: D3D70070 1DC23D9E
	buffer_load_dword v40, s[20:23], 0 offen lds               // 0000000052F8: E0511000 80050028
	s_add_u32 m0, 0x200, s49                                   // 000000005300: 807C31FF 00000200
	buffer_load_dword v41, s[20:23], 0 offen lds               // 000000005308: E0511000 80050029
	s_add_u32 m0, 0x300, s49                                   // 000000005310: 807C31FF 00000300
	buffer_load_dword v42, s[20:23], 0 offen lds               // 000000005318: E0511000 8005002A
	s_add_u32 m0, 0, s50                                       // 000000005320: 807C3280
	s_waitcnt vmcnt(20)                                        // 000000005324: BF8C4F74
	s_barrier                                                  // 000000005328: BF8A0000
	v_mfma_i32_16x16x32_i8 v[116:119], a[160:161], a[16:17], v[116:119]// 00000000532C: D3D70074 1DD221A0
	v_mfma_i32_16x16x32_i8 v[116:119], a[162:163], a[18:19], v[116:119]// 000000005334: D3D70074 1DD225A2
	buffer_load_dwordx4 a[96:99], v43, s[84:87], 0 offen       // 00000000533C: E05C1000 8095602B
	v_mfma_i32_16x16x32_i8 v[116:119], a[164:165], a[20:21], v[116:119]// 000000005344: D3D70074 1DD229A4
	v_mfma_i32_16x16x32_i8 v[116:119], a[166:167], a[22:23], v[116:119]// 00000000534C: D3D70074 1DD22DA6
	ds_read_b128 a[0:3], v2                                    // 000000005354: DBFE0000 00000002
	ds_read_b128 a[4:7], v2 offset:64                          // 00000000535C: DBFE0040 04000002
	v_mfma_i32_16x16x32_i8 v[124:127], a[168:169], a[16:17], v[124:127]// 000000005364: D3D7007C 1DF221A8
	v_mfma_i32_16x16x32_i8 v[124:127], a[170:171], a[18:19], v[124:127]// 00000000536C: D3D7007C 1DF225AA
	buffer_load_dwordx4 a[100:103], v43, s[84:87], 0 offen offset:1024// 000000005374: E05C1400 8095642B
	v_mfma_i32_16x16x32_i8 v[124:127], a[172:173], a[20:21], v[124:127]// 00000000537C: D3D7007C 1DF229AC
	v_mfma_i32_16x16x32_i8 v[124:127], a[174:175], a[22:23], v[124:127]// 000000005384: D3D7007C 1DF22DAE
	ds_read_b128 a[8:11], v2 offset:512                        // 00000000538C: DBFE0200 08000002
	ds_read_b128 a[12:15], v2 offset:576                       // 000000005394: DBFE0240 0C000002
	v_mfma_i32_16x16x32_i8 v[132:135], a[176:177], a[16:17], v[132:135]// 00000000539C: D3D70084 1E1221B0
	v_mfma_i32_16x16x32_i8 v[132:135], a[178:179], a[18:19], v[132:135]// 0000000053A4: D3D70084 1E1225B2
	buffer_load_dwordx4 a[104:107], v44, s[84:87], 0 offen     // 0000000053AC: E05C1000 8095682C
	v_mfma_i32_16x16x32_i8 v[132:135], a[180:181], a[20:21], v[132:135]// 0000000053B4: D3D70084 1E1229B4
	v_mfma_i32_16x16x32_i8 v[132:135], a[182:183], a[22:23], v[132:135]// 0000000053BC: D3D70084 1E122DB6
	v_mfma_i32_16x16x32_i8 v[140:143], a[184:185], a[16:17], v[140:143]// 0000000053C4: D3D7008C 1E3221B8
	v_mfma_i32_16x16x32_i8 v[140:143], a[186:187], a[18:19], v[140:143]// 0000000053CC: D3D7008C 1E3225BA
	buffer_load_dwordx4 a[108:111], v44, s[84:87], 0 offen offset:1024// 0000000053D4: E05C1400 80956C2C
	v_mfma_i32_16x16x32_i8 v[140:143], a[188:189], a[20:21], v[140:143]// 0000000053DC: D3D7008C 1E3229BC
	v_mfma_i32_16x16x32_i8 v[140:143], a[190:191], a[22:23], v[140:143]// 0000000053E4: D3D7008C 1E322DBE
	v_mfma_i32_16x16x32_i8 v[148:151], a[192:193], a[16:17], v[148:151]// 0000000053EC: D3D70094 1E5221C0
	v_mfma_i32_16x16x32_i8 v[148:151], a[194:195], a[18:19], v[148:151]// 0000000053F4: D3D70094 1E5225C2
	buffer_load_dwordx4 a[112:115], v45, s[84:87], 0 offen     // 0000000053FC: E05C1000 8095702D
	v_mfma_i32_16x16x32_i8 v[148:151], a[196:197], a[20:21], v[148:151]// 000000005404: D3D70094 1E5229C4
	v_mfma_i32_16x16x32_i8 v[148:151], a[198:199], a[22:23], v[148:151]// 00000000540C: D3D70094 1E522DC6
	v_mfma_i32_16x16x32_i8 v[156:159], a[200:201], a[16:17], v[156:159]// 000000005414: D3D7009C 1E7221C8
	v_mfma_i32_16x16x32_i8 v[156:159], a[202:203], a[18:19], v[156:159]// 00000000541C: D3D7009C 1E7225CA
	buffer_load_dwordx4 a[116:119], v45, s[84:87], 0 offen offset:1024// 000000005424: E05C1400 8095742D
	v_mfma_i32_16x16x32_i8 v[156:159], a[204:205], a[20:21], v[156:159]// 00000000542C: D3D7009C 1E7229CC
	v_mfma_i32_16x16x32_i8 v[156:159], a[206:207], a[22:23], v[156:159]// 000000005434: D3D7009C 1E722DCE
	v_mfma_i32_16x16x32_i8 v[164:167], a[208:209], a[16:17], v[164:167]// 00000000543C: D3D700A4 1E9221D0
	v_mfma_i32_16x16x32_i8 v[164:167], a[210:211], a[18:19], v[164:167]// 000000005444: D3D700A4 1E9225D2
	buffer_load_dwordx4 a[120:123], v46, s[84:87], 0 offen     // 00000000544C: E05C1000 8095782E
	v_mfma_i32_16x16x32_i8 v[164:167], a[212:213], a[20:21], v[164:167]// 000000005454: D3D700A4 1E9229D4
	v_mfma_i32_16x16x32_i8 v[164:167], a[214:215], a[22:23], v[164:167]// 00000000545C: D3D700A4 1E922DD6
	v_mfma_i32_16x16x32_i8 v[172:175], a[216:217], a[16:17], v[172:175]// 000000005464: D3D700AC 1EB221D8
	v_mfma_i32_16x16x32_i8 v[172:175], a[218:219], a[18:19], v[172:175]// 00000000546C: D3D700AC 1EB225DA
	buffer_load_dwordx4 a[124:127], v46, s[84:87], 0 offen offset:1024// 000000005474: E05C1400 80957C2E
	v_mfma_i32_16x16x32_i8 v[172:175], a[220:221], a[20:21], v[172:175]// 00000000547C: D3D700AC 1EB229DC
	v_mfma_i32_16x16x32_i8 v[172:175], a[222:223], a[22:23], v[172:175]// 000000005484: D3D700AC 1EB22DDE
	v_mfma_i32_16x16x32_i8 v[120:123], a[160:161], a[24:25], v[120:123]// 00000000548C: D3D70078 1DE231A0
	v_mfma_i32_16x16x32_i8 v[120:123], a[162:163], a[26:27], v[120:123]// 000000005494: D3D70078 1DE235A2
	buffer_load_dwordx4 a[128:131], v47, s[84:87], 0 offen     // 00000000549C: E05C1000 8095802F
	v_mfma_i32_16x16x32_i8 v[120:123], a[164:165], a[28:29], v[120:123]// 0000000054A4: D3D70078 1DE239A4
	v_mfma_i32_16x16x32_i8 v[120:123], a[166:167], a[30:31], v[120:123]// 0000000054AC: D3D70078 1DE23DA6
	v_mfma_i32_16x16x32_i8 v[128:131], a[168:169], a[24:25], v[128:131]// 0000000054B4: D3D70080 1E0231A8
	v_mfma_i32_16x16x32_i8 v[128:131], a[170:171], a[26:27], v[128:131]// 0000000054BC: D3D70080 1E0235AA
	buffer_load_dwordx4 a[132:135], v47, s[84:87], 0 offen offset:1024// 0000000054C4: E05C1400 8095842F
	v_mfma_i32_16x16x32_i8 v[128:131], a[172:173], a[28:29], v[128:131]// 0000000054CC: D3D70080 1E0239AC
	v_mfma_i32_16x16x32_i8 v[128:131], a[174:175], a[30:31], v[128:131]// 0000000054D4: D3D70080 1E023DAE
	v_mfma_i32_16x16x32_i8 v[136:139], a[176:177], a[24:25], v[136:139]// 0000000054DC: D3D70088 1E2231B0
	v_mfma_i32_16x16x32_i8 v[136:139], a[178:179], a[26:27], v[136:139]// 0000000054E4: D3D70088 1E2235B2
	buffer_load_dwordx4 a[136:139], v48, s[84:87], 0 offen     // 0000000054EC: E05C1000 80958830
	v_mfma_i32_16x16x32_i8 v[136:139], a[180:181], a[28:29], v[136:139]// 0000000054F4: D3D70088 1E2239B4
	v_mfma_i32_16x16x32_i8 v[136:139], a[182:183], a[30:31], v[136:139]// 0000000054FC: D3D70088 1E223DB6
	v_mfma_i32_16x16x32_i8 v[144:147], a[184:185], a[24:25], v[144:147]// 000000005504: D3D70090 1E4231B8
	v_mfma_i32_16x16x32_i8 v[144:147], a[186:187], a[26:27], v[144:147]// 00000000550C: D3D70090 1E4235BA
	buffer_load_dwordx4 a[140:143], v48, s[84:87], 0 offen offset:1024// 000000005514: E05C1400 80958C30
	v_mfma_i32_16x16x32_i8 v[144:147], a[188:189], a[28:29], v[144:147]// 00000000551C: D3D70090 1E4239BC
	v_mfma_i32_16x16x32_i8 v[144:147], a[190:191], a[30:31], v[144:147]// 000000005524: D3D70090 1E423DBE
	v_mfma_i32_16x16x32_i8 v[152:155], a[192:193], a[24:25], v[152:155]// 00000000552C: D3D70098 1E6231C0
	v_mfma_i32_16x16x32_i8 v[152:155], a[194:195], a[26:27], v[152:155]// 000000005534: D3D70098 1E6235C2
	buffer_load_dwordx4 a[144:147], v49, s[84:87], 0 offen     // 00000000553C: E05C1000 80959031
	v_mfma_i32_16x16x32_i8 v[152:155], a[196:197], a[28:29], v[152:155]// 000000005544: D3D70098 1E6239C4
	v_mfma_i32_16x16x32_i8 v[152:155], a[198:199], a[30:31], v[152:155]// 00000000554C: D3D70098 1E623DC6
	v_mfma_i32_16x16x32_i8 v[160:163], a[200:201], a[24:25], v[160:163]// 000000005554: D3D700A0 1E8231C8
	v_mfma_i32_16x16x32_i8 v[160:163], a[202:203], a[26:27], v[160:163]// 00000000555C: D3D700A0 1E8235CA
	buffer_load_dwordx4 a[148:151], v49, s[84:87], 0 offen offset:1024// 000000005564: E05C1400 80959431
	v_mfma_i32_16x16x32_i8 v[160:163], a[204:205], a[28:29], v[160:163]// 00000000556C: D3D700A0 1E8239CC
	v_mfma_i32_16x16x32_i8 v[160:163], a[206:207], a[30:31], v[160:163]// 000000005574: D3D700A0 1E823DCE
	v_mfma_i32_16x16x32_i8 v[168:171], a[208:209], a[24:25], v[168:171]// 00000000557C: D3D700A8 1EA231D0
	s_add_u32 s60, 0x180, s80                                  // 000000005584: 803C50FF 00000180
	s_cmp_lt_u32 s60, s81                                      // 00000000558C: BF0A513C
	s_cselect_b32 s57, s57, 0                                  // 000000005590: 85398039
	v_mfma_i32_16x16x32_i8 v[168:171], a[210:211], a[26:27], v[168:171]// 000000005594: D3D700A8 1EA235D2
	buffer_load_dwordx4 a[152:155], v50, s[84:87], 0 offen     // 00000000559C: E05C1000 80959832
	s_add_u32 s60, 0x100, s80                                  // 0000000055A4: 803C50FF 00000100
	s_cmp_lt_u32 s60, s81                                      // 0000000055AC: BF0A513C
	s_cselect_b32 s58, s58, 0                                  // 0000000055B0: 853A803A
	v_mfma_i32_16x16x32_i8 v[168:171], a[212:213], a[28:29], v[168:171]// 0000000055B4: D3D700A8 1EA239D4
	s_add_u32 s60, 0x100, s80                                  // 0000000055BC: 803C50FF 00000100
	s_cmp_lt_u32 s60, s81                                      // 0000000055C4: BF0A513C
	s_cselect_b32 s83, s83, 0                                  // 0000000055C8: 85538053
	v_mfma_i32_16x16x32_i8 v[168:171], a[214:215], a[30:31], v[168:171]// 0000000055CC: D3D700A8 1EA23DD6
	s_add_u32 s24, s58, s24                                    // 0000000055D4: 8018183A
	s_addc_u32 s25, 0, s25                                     // 0000000055D8: 82191980
	v_mfma_i32_16x16x32_i8 v[176:179], a[216:217], a[24:25], v[176:179]// 0000000055DC: D3D700B0 1EC231D8
	s_add_u32 s20, s57, s20                                    // 0000000055E4: 80141439
	s_addc_u32 s21, 0, s21                                     // 0000000055E8: 82151580
	v_mfma_i32_16x16x32_i8 v[176:179], a[218:219], a[26:27], v[176:179]// 0000000055EC: D3D700B0 1EC235DA
	buffer_load_dwordx4 a[156:159], v50, s[84:87], 0 offen offset:1024// 0000000055F4: E05C1400 80959C32
	s_add_u32 s84, s83, s84                                    // 0000000055FC: 80545453
	s_addc_u32 s85, 0, s85                                     // 000000005600: 82555580
	v_mfma_i32_16x16x32_i8 v[176:179], a[220:221], a[28:29], v[176:179]// 000000005604: D3D700B0 1EC239DC
	v_mfma_i32_16x16x32_i8 v[176:179], a[222:223], a[30:31], v[176:179]// 00000000560C: D3D700B0 1EC23DDE
	s_addk_i32 s80, 0x80                                       // 000000005614: B7500080
	s_cmp_lt_i32 s80, s81                                      // 000000005618: BF045150
	s_cbranch_scc0 label_0B09                                  // 00000000561C: BF840001
	s_branch label_026E                                        // 000000005620: BF82F765

0000000000005624 <label_0B09>:
	v_cvt_f32_i32_e32 v52, v52                                 // 000000005624: 7E680B34
	v_cvt_f32_i32_e32 v53, v53                                 // 000000005628: 7E6A0B35
	v_cvt_f32_i32_e32 v54, v54                                 // 00000000562C: 7E6C0B36
	v_cvt_f32_i32_e32 v55, v55                                 // 000000005630: 7E6E0B37
	v_mul_f32_dpp v52, v25, v52 row_newbcast:0 row_mask:0xf bank_mask:0xf// 000000005634: 0A6868FA FF015019
	v_mul_f32_dpp v53, v25, v53 row_newbcast:1 row_mask:0xf bank_mask:0xf// 00000000563C: 0A6A6AFA FF015119
	v_mul_f32_dpp v54, v25, v54 row_newbcast:2 row_mask:0xf bank_mask:0xf// 000000005644: 0A6C6CFA FF015219
	v_mul_f32_dpp v55, v25, v55 row_newbcast:3 row_mask:0xf bank_mask:0xf// 00000000564C: 0A6E6EFA FF015319
	v_cvt_f32_i32_e32 v56, v56                                 // 000000005654: 7E700B38
	v_cvt_f32_i32_e32 v57, v57                                 // 000000005658: 7E720B39
	v_cvt_f32_i32_e32 v58, v58                                 // 00000000565C: 7E740B3A
	v_cvt_f32_i32_e32 v59, v59                                 // 000000005660: 7E760B3B
	v_mul_f32_dpp v56, v25, v56 row_newbcast:0 row_mask:0xf bank_mask:0xf// 000000005664: 0A7070FA FF015019
	v_mul_f32_dpp v57, v25, v57 row_newbcast:1 row_mask:0xf bank_mask:0xf// 00000000566C: 0A7272FA FF015119
	v_mul_f32_dpp v58, v25, v58 row_newbcast:2 row_mask:0xf bank_mask:0xf// 000000005674: 0A7474FA FF015219
	v_mul_f32_dpp v59, v25, v59 row_newbcast:3 row_mask:0xf bank_mask:0xf// 00000000567C: 0A7676FA FF015319
	v_cvt_f32_i32_e32 v60, v60                                 // 000000005684: 7E780B3C
	v_cvt_f32_i32_e32 v61, v61                                 // 000000005688: 7E7A0B3D
	v_cvt_f32_i32_e32 v62, v62                                 // 00000000568C: 7E7C0B3E
	v_cvt_f32_i32_e32 v63, v63                                 // 000000005690: 7E7E0B3F
	v_mul_f32_dpp v60, v25, v60 row_newbcast:4 row_mask:0xf bank_mask:0xf// 000000005694: 0A7878FA FF015419
	v_mul_f32_dpp v61, v25, v61 row_newbcast:5 row_mask:0xf bank_mask:0xf// 00000000569C: 0A7A7AFA FF015519
	v_mul_f32_dpp v62, v25, v62 row_newbcast:6 row_mask:0xf bank_mask:0xf// 0000000056A4: 0A7C7CFA FF015619
	v_mul_f32_dpp v63, v25, v63 row_newbcast:7 row_mask:0xf bank_mask:0xf// 0000000056AC: 0A7E7EFA FF015719
	v_cvt_f32_i32_e32 v64, v64                                 // 0000000056B4: 7E800B40
	v_cvt_f32_i32_e32 v65, v65                                 // 0000000056B8: 7E820B41
	v_cvt_f32_i32_e32 v66, v66                                 // 0000000056BC: 7E840B42
	v_cvt_f32_i32_e32 v67, v67                                 // 0000000056C0: 7E860B43
	v_mul_f32_dpp v64, v25, v64 row_newbcast:4 row_mask:0xf bank_mask:0xf// 0000000056C4: 0A8080FA FF015419
	v_mul_f32_dpp v65, v25, v65 row_newbcast:5 row_mask:0xf bank_mask:0xf// 0000000056CC: 0A8282FA FF015519
	v_mul_f32_dpp v66, v25, v66 row_newbcast:6 row_mask:0xf bank_mask:0xf// 0000000056D4: 0A8484FA FF015619
	v_mul_f32_dpp v67, v25, v67 row_newbcast:7 row_mask:0xf bank_mask:0xf// 0000000056DC: 0A8686FA FF015719
	v_cvt_f32_i32_e32 v68, v68                                 // 0000000056E4: 7E880B44
	v_cvt_f32_i32_e32 v69, v69                                 // 0000000056E8: 7E8A0B45
	v_cvt_f32_i32_e32 v70, v70                                 // 0000000056EC: 7E8C0B46
	v_cvt_f32_i32_e32 v71, v71                                 // 0000000056F0: 7E8E0B47
	v_mul_f32_dpp v68, v25, v68 row_newbcast:8 row_mask:0xf bank_mask:0xf// 0000000056F4: 0A8888FA FF015819
	v_mul_f32_dpp v69, v25, v69 row_newbcast:9 row_mask:0xf bank_mask:0xf// 0000000056FC: 0A8A8AFA FF015919
	v_mul_f32_dpp v70, v25, v70 row_newbcast:10 row_mask:0xf bank_mask:0xf// 000000005704: 0A8C8CFA FF015A19
	v_mul_f32_dpp v71, v25, v71 row_newbcast:11 row_mask:0xf bank_mask:0xf// 00000000570C: 0A8E8EFA FF015B19
	v_cvt_f32_i32_e32 v72, v72                                 // 000000005714: 7E900B48
	v_cvt_f32_i32_e32 v73, v73                                 // 000000005718: 7E920B49
	v_cvt_f32_i32_e32 v74, v74                                 // 00000000571C: 7E940B4A
	v_cvt_f32_i32_e32 v75, v75                                 // 000000005720: 7E960B4B
	v_mul_f32_dpp v72, v25, v72 row_newbcast:8 row_mask:0xf bank_mask:0xf// 000000005724: 0A9090FA FF015819
	v_mul_f32_dpp v73, v25, v73 row_newbcast:9 row_mask:0xf bank_mask:0xf// 00000000572C: 0A9292FA FF015919
	v_mul_f32_dpp v74, v25, v74 row_newbcast:10 row_mask:0xf bank_mask:0xf// 000000005734: 0A9494FA FF015A19
	v_mul_f32_dpp v75, v25, v75 row_newbcast:11 row_mask:0xf bank_mask:0xf// 00000000573C: 0A9696FA FF015B19
	v_cvt_f32_i32_e32 v76, v76                                 // 000000005744: 7E980B4C
	v_cvt_f32_i32_e32 v77, v77                                 // 000000005748: 7E9A0B4D
	v_cvt_f32_i32_e32 v78, v78                                 // 00000000574C: 7E9C0B4E
	v_cvt_f32_i32_e32 v79, v79                                 // 000000005750: 7E9E0B4F
	v_mul_f32_dpp v76, v25, v76 row_newbcast:12 row_mask:0xf bank_mask:0xf// 000000005754: 0A9898FA FF015C19
	v_mul_f32_dpp v77, v25, v77 row_newbcast:13 row_mask:0xf bank_mask:0xf// 00000000575C: 0A9A9AFA FF015D19
	v_mul_f32_dpp v78, v25, v78 row_newbcast:14 row_mask:0xf bank_mask:0xf// 000000005764: 0A9C9CFA FF015E19
	v_mul_f32_dpp v79, v25, v79 row_newbcast:15 row_mask:0xf bank_mask:0xf// 00000000576C: 0A9E9EFA FF015F19
	v_cvt_f32_i32_e32 v80, v80                                 // 000000005774: 7EA00B50
	v_cvt_f32_i32_e32 v81, v81                                 // 000000005778: 7EA20B51
	v_cvt_f32_i32_e32 v82, v82                                 // 00000000577C: 7EA40B52
	v_cvt_f32_i32_e32 v83, v83                                 // 000000005780: 7EA60B53
	v_mul_f32_dpp v80, v25, v80 row_newbcast:12 row_mask:0xf bank_mask:0xf// 000000005784: 0AA0A0FA FF015C19
	v_mul_f32_dpp v81, v25, v81 row_newbcast:13 row_mask:0xf bank_mask:0xf// 00000000578C: 0AA2A2FA FF015D19
	v_mul_f32_dpp v82, v25, v82 row_newbcast:14 row_mask:0xf bank_mask:0xf// 000000005794: 0AA4A4FA FF015E19
	v_mul_f32_dpp v83, v25, v83 row_newbcast:15 row_mask:0xf bank_mask:0xf// 00000000579C: 0AA6A6FA FF015F19
	v_cvt_f32_i32_e32 v84, v84                                 // 0000000057A4: 7EA80B54
	v_cvt_f32_i32_e32 v85, v85                                 // 0000000057A8: 7EAA0B55
	v_cvt_f32_i32_e32 v86, v86                                 // 0000000057AC: 7EAC0B56
	v_cvt_f32_i32_e32 v87, v87                                 // 0000000057B0: 7EAE0B57
	v_mul_f32_dpp v84, v26, v84 row_newbcast:0 row_mask:0xf bank_mask:0xf// 0000000057B4: 0AA8A8FA FF01501A
	v_mul_f32_dpp v85, v26, v85 row_newbcast:1 row_mask:0xf bank_mask:0xf// 0000000057BC: 0AAAAAFA FF01511A
	v_mul_f32_dpp v86, v26, v86 row_newbcast:2 row_mask:0xf bank_mask:0xf// 0000000057C4: 0AACACFA FF01521A
	v_mul_f32_dpp v87, v26, v87 row_newbcast:3 row_mask:0xf bank_mask:0xf// 0000000057CC: 0AAEAEFA FF01531A
	v_cvt_f32_i32_e32 v88, v88                                 // 0000000057D4: 7EB00B58
	v_cvt_f32_i32_e32 v89, v89                                 // 0000000057D8: 7EB20B59
	v_cvt_f32_i32_e32 v90, v90                                 // 0000000057DC: 7EB40B5A
	v_cvt_f32_i32_e32 v91, v91                                 // 0000000057E0: 7EB60B5B
	v_mul_f32_dpp v88, v26, v88 row_newbcast:0 row_mask:0xf bank_mask:0xf// 0000000057E4: 0AB0B0FA FF01501A
	v_mul_f32_dpp v89, v26, v89 row_newbcast:1 row_mask:0xf bank_mask:0xf// 0000000057EC: 0AB2B2FA FF01511A
	v_mul_f32_dpp v90, v26, v90 row_newbcast:2 row_mask:0xf bank_mask:0xf// 0000000057F4: 0AB4B4FA FF01521A
	v_mul_f32_dpp v91, v26, v91 row_newbcast:3 row_mask:0xf bank_mask:0xf// 0000000057FC: 0AB6B6FA FF01531A
	v_cvt_f32_i32_e32 v92, v92                                 // 000000005804: 7EB80B5C
	v_cvt_f32_i32_e32 v93, v93                                 // 000000005808: 7EBA0B5D
	v_cvt_f32_i32_e32 v94, v94                                 // 00000000580C: 7EBC0B5E
	v_cvt_f32_i32_e32 v95, v95                                 // 000000005810: 7EBE0B5F
	v_mul_f32_dpp v92, v26, v92 row_newbcast:4 row_mask:0xf bank_mask:0xf// 000000005814: 0AB8B8FA FF01541A
	v_mul_f32_dpp v93, v26, v93 row_newbcast:5 row_mask:0xf bank_mask:0xf// 00000000581C: 0ABABAFA FF01551A
	v_mul_f32_dpp v94, v26, v94 row_newbcast:6 row_mask:0xf bank_mask:0xf// 000000005824: 0ABCBCFA FF01561A
	v_mul_f32_dpp v95, v26, v95 row_newbcast:7 row_mask:0xf bank_mask:0xf// 00000000582C: 0ABEBEFA FF01571A
	v_cvt_f32_i32_e32 v96, v96                                 // 000000005834: 7EC00B60
	v_cvt_f32_i32_e32 v97, v97                                 // 000000005838: 7EC20B61
	v_cvt_f32_i32_e32 v98, v98                                 // 00000000583C: 7EC40B62
	v_cvt_f32_i32_e32 v99, v99                                 // 000000005840: 7EC60B63
	v_mul_f32_dpp v96, v26, v96 row_newbcast:4 row_mask:0xf bank_mask:0xf// 000000005844: 0AC0C0FA FF01541A
	v_mul_f32_dpp v97, v26, v97 row_newbcast:5 row_mask:0xf bank_mask:0xf// 00000000584C: 0AC2C2FA FF01551A
	v_mul_f32_dpp v98, v26, v98 row_newbcast:6 row_mask:0xf bank_mask:0xf// 000000005854: 0AC4C4FA FF01561A
	v_mul_f32_dpp v99, v26, v99 row_newbcast:7 row_mask:0xf bank_mask:0xf// 00000000585C: 0AC6C6FA FF01571A
	v_cvt_f32_i32_e32 v100, v100                               // 000000005864: 7EC80B64
	v_cvt_f32_i32_e32 v101, v101                               // 000000005868: 7ECA0B65
	v_cvt_f32_i32_e32 v102, v102                               // 00000000586C: 7ECC0B66
	v_cvt_f32_i32_e32 v103, v103                               // 000000005870: 7ECE0B67
	v_mul_f32_dpp v100, v26, v100 row_newbcast:8 row_mask:0xf bank_mask:0xf// 000000005874: 0AC8C8FA FF01581A
	v_mul_f32_dpp v101, v26, v101 row_newbcast:9 row_mask:0xf bank_mask:0xf// 00000000587C: 0ACACAFA FF01591A
	v_mul_f32_dpp v102, v26, v102 row_newbcast:10 row_mask:0xf bank_mask:0xf// 000000005884: 0ACCCCFA FF015A1A
	v_mul_f32_dpp v103, v26, v103 row_newbcast:11 row_mask:0xf bank_mask:0xf// 00000000588C: 0ACECEFA FF015B1A
	v_cvt_f32_i32_e32 v104, v104                               // 000000005894: 7ED00B68
	v_cvt_f32_i32_e32 v105, v105                               // 000000005898: 7ED20B69
	v_cvt_f32_i32_e32 v106, v106                               // 00000000589C: 7ED40B6A
	v_cvt_f32_i32_e32 v107, v107                               // 0000000058A0: 7ED60B6B
	v_mul_f32_dpp v104, v26, v104 row_newbcast:8 row_mask:0xf bank_mask:0xf// 0000000058A4: 0AD0D0FA FF01581A
	v_mul_f32_dpp v105, v26, v105 row_newbcast:9 row_mask:0xf bank_mask:0xf// 0000000058AC: 0AD2D2FA FF01591A
	v_mul_f32_dpp v106, v26, v106 row_newbcast:10 row_mask:0xf bank_mask:0xf// 0000000058B4: 0AD4D4FA FF015A1A
	v_mul_f32_dpp v107, v26, v107 row_newbcast:11 row_mask:0xf bank_mask:0xf// 0000000058BC: 0AD6D6FA FF015B1A
	v_cvt_f32_i32_e32 v108, v108                               // 0000000058C4: 7ED80B6C
	v_cvt_f32_i32_e32 v109, v109                               // 0000000058C8: 7EDA0B6D
	v_cvt_f32_i32_e32 v110, v110                               // 0000000058CC: 7EDC0B6E
	v_cvt_f32_i32_e32 v111, v111                               // 0000000058D0: 7EDE0B6F
	v_mul_f32_dpp v108, v26, v108 row_newbcast:12 row_mask:0xf bank_mask:0xf// 0000000058D4: 0AD8D8FA FF015C1A
	v_mul_f32_dpp v109, v26, v109 row_newbcast:13 row_mask:0xf bank_mask:0xf// 0000000058DC: 0ADADAFA FF015D1A
	v_mul_f32_dpp v110, v26, v110 row_newbcast:14 row_mask:0xf bank_mask:0xf// 0000000058E4: 0ADCDCFA FF015E1A
	v_mul_f32_dpp v111, v26, v111 row_newbcast:15 row_mask:0xf bank_mask:0xf// 0000000058EC: 0ADEDEFA FF015F1A
	v_cvt_f32_i32_e32 v112, v112                               // 0000000058F4: 7EE00B70
	v_cvt_f32_i32_e32 v113, v113                               // 0000000058F8: 7EE20B71
	v_cvt_f32_i32_e32 v114, v114                               // 0000000058FC: 7EE40B72
	v_cvt_f32_i32_e32 v115, v115                               // 000000005900: 7EE60B73
	v_mul_f32_dpp v112, v26, v112 row_newbcast:12 row_mask:0xf bank_mask:0xf// 000000005904: 0AE0E0FA FF015C1A
	v_mul_f32_dpp v113, v26, v113 row_newbcast:13 row_mask:0xf bank_mask:0xf// 00000000590C: 0AE2E2FA FF015D1A
	v_mul_f32_dpp v114, v26, v114 row_newbcast:14 row_mask:0xf bank_mask:0xf// 000000005914: 0AE4E4FA FF015E1A
	v_mul_f32_dpp v115, v26, v115 row_newbcast:15 row_mask:0xf bank_mask:0xf// 00000000591C: 0AE6E6FA FF015F1A
	v_cvt_f32_i32_e32 v116, v116                               // 000000005924: 7EE80B74
	v_cvt_f32_i32_e32 v117, v117                               // 000000005928: 7EEA0B75
	v_cvt_f32_i32_e32 v118, v118                               // 00000000592C: 7EEC0B76
	v_cvt_f32_i32_e32 v119, v119                               // 000000005930: 7EEE0B77
	v_mul_f32_dpp v116, v28, v116 row_newbcast:0 row_mask:0xf bank_mask:0xf// 000000005934: 0AE8E8FA FF01501C
	v_mul_f32_dpp v117, v28, v117 row_newbcast:1 row_mask:0xf bank_mask:0xf// 00000000593C: 0AEAEAFA FF01511C
	v_mul_f32_dpp v118, v28, v118 row_newbcast:2 row_mask:0xf bank_mask:0xf// 000000005944: 0AECECFA FF01521C
	v_mul_f32_dpp v119, v28, v119 row_newbcast:3 row_mask:0xf bank_mask:0xf// 00000000594C: 0AEEEEFA FF01531C
	v_cvt_f32_i32_e32 v120, v120                               // 000000005954: 7EF00B78
	v_cvt_f32_i32_e32 v121, v121                               // 000000005958: 7EF20B79
	v_cvt_f32_i32_e32 v122, v122                               // 00000000595C: 7EF40B7A
	v_cvt_f32_i32_e32 v123, v123                               // 000000005960: 7EF60B7B
	v_mul_f32_dpp v120, v28, v120 row_newbcast:0 row_mask:0xf bank_mask:0xf// 000000005964: 0AF0F0FA FF01501C
	v_mul_f32_dpp v121, v28, v121 row_newbcast:1 row_mask:0xf bank_mask:0xf// 00000000596C: 0AF2F2FA FF01511C
	v_mul_f32_dpp v122, v28, v122 row_newbcast:2 row_mask:0xf bank_mask:0xf// 000000005974: 0AF4F4FA FF01521C
	v_mul_f32_dpp v123, v28, v123 row_newbcast:3 row_mask:0xf bank_mask:0xf// 00000000597C: 0AF6F6FA FF01531C
	v_cvt_f32_i32_e32 v124, v124                               // 000000005984: 7EF80B7C
	v_cvt_f32_i32_e32 v125, v125                               // 000000005988: 7EFA0B7D
	v_cvt_f32_i32_e32 v126, v126                               // 00000000598C: 7EFC0B7E
	v_cvt_f32_i32_e32 v127, v127                               // 000000005990: 7EFE0B7F
	v_mul_f32_dpp v124, v28, v124 row_newbcast:4 row_mask:0xf bank_mask:0xf// 000000005994: 0AF8F8FA FF01541C
	v_mul_f32_dpp v125, v28, v125 row_newbcast:5 row_mask:0xf bank_mask:0xf// 00000000599C: 0AFAFAFA FF01551C
	v_mul_f32_dpp v126, v28, v126 row_newbcast:6 row_mask:0xf bank_mask:0xf// 0000000059A4: 0AFCFCFA FF01561C
	v_mul_f32_dpp v127, v28, v127 row_newbcast:7 row_mask:0xf bank_mask:0xf// 0000000059AC: 0AFEFEFA FF01571C
	v_cvt_f32_i32_e32 v128, v128                               // 0000000059B4: 7F000B80
	v_cvt_f32_i32_e32 v129, v129                               // 0000000059B8: 7F020B81
	v_cvt_f32_i32_e32 v130, v130                               // 0000000059BC: 7F040B82
	v_cvt_f32_i32_e32 v131, v131                               // 0000000059C0: 7F060B83
	v_mul_f32_dpp v128, v28, v128 row_newbcast:4 row_mask:0xf bank_mask:0xf// 0000000059C4: 0B0100FA FF01541C
	v_mul_f32_dpp v129, v28, v129 row_newbcast:5 row_mask:0xf bank_mask:0xf// 0000000059CC: 0B0302FA FF01551C
	v_mul_f32_dpp v130, v28, v130 row_newbcast:6 row_mask:0xf bank_mask:0xf// 0000000059D4: 0B0504FA FF01561C
	v_mul_f32_dpp v131, v28, v131 row_newbcast:7 row_mask:0xf bank_mask:0xf// 0000000059DC: 0B0706FA FF01571C
	v_cvt_f32_i32_e32 v132, v132                               // 0000000059E4: 7F080B84
	v_cvt_f32_i32_e32 v133, v133                               // 0000000059E8: 7F0A0B85
	v_cvt_f32_i32_e32 v134, v134                               // 0000000059EC: 7F0C0B86
	v_cvt_f32_i32_e32 v135, v135                               // 0000000059F0: 7F0E0B87
	v_mul_f32_dpp v132, v28, v132 row_newbcast:8 row_mask:0xf bank_mask:0xf// 0000000059F4: 0B0908FA FF01581C
	v_mul_f32_dpp v133, v28, v133 row_newbcast:9 row_mask:0xf bank_mask:0xf// 0000000059FC: 0B0B0AFA FF01591C
	v_mul_f32_dpp v134, v28, v134 row_newbcast:10 row_mask:0xf bank_mask:0xf// 000000005A04: 0B0D0CFA FF015A1C
	v_mul_f32_dpp v135, v28, v135 row_newbcast:11 row_mask:0xf bank_mask:0xf// 000000005A0C: 0B0F0EFA FF015B1C
	v_cvt_f32_i32_e32 v136, v136                               // 000000005A14: 7F100B88
	v_cvt_f32_i32_e32 v137, v137                               // 000000005A18: 7F120B89
	v_cvt_f32_i32_e32 v138, v138                               // 000000005A1C: 7F140B8A
	v_cvt_f32_i32_e32 v139, v139                               // 000000005A20: 7F160B8B
	v_mul_f32_dpp v136, v28, v136 row_newbcast:8 row_mask:0xf bank_mask:0xf// 000000005A24: 0B1110FA FF01581C
	v_mul_f32_dpp v137, v28, v137 row_newbcast:9 row_mask:0xf bank_mask:0xf// 000000005A2C: 0B1312FA FF01591C
	v_mul_f32_dpp v138, v28, v138 row_newbcast:10 row_mask:0xf bank_mask:0xf// 000000005A34: 0B1514FA FF015A1C
	v_mul_f32_dpp v139, v28, v139 row_newbcast:11 row_mask:0xf bank_mask:0xf// 000000005A3C: 0B1716FA FF015B1C
	v_cvt_f32_i32_e32 v140, v140                               // 000000005A44: 7F180B8C
	v_cvt_f32_i32_e32 v141, v141                               // 000000005A48: 7F1A0B8D
	v_cvt_f32_i32_e32 v142, v142                               // 000000005A4C: 7F1C0B8E
	v_cvt_f32_i32_e32 v143, v143                               // 000000005A50: 7F1E0B8F
	v_mul_f32_dpp v140, v28, v140 row_newbcast:12 row_mask:0xf bank_mask:0xf// 000000005A54: 0B1918FA FF015C1C
	v_mul_f32_dpp v141, v28, v141 row_newbcast:13 row_mask:0xf bank_mask:0xf// 000000005A5C: 0B1B1AFA FF015D1C
	v_mul_f32_dpp v142, v28, v142 row_newbcast:14 row_mask:0xf bank_mask:0xf// 000000005A64: 0B1D1CFA FF015E1C
	v_mul_f32_dpp v143, v28, v143 row_newbcast:15 row_mask:0xf bank_mask:0xf// 000000005A6C: 0B1F1EFA FF015F1C
	v_cvt_f32_i32_e32 v144, v144                               // 000000005A74: 7F200B90
	v_cvt_f32_i32_e32 v145, v145                               // 000000005A78: 7F220B91
	v_cvt_f32_i32_e32 v146, v146                               // 000000005A7C: 7F240B92
	v_cvt_f32_i32_e32 v147, v147                               // 000000005A80: 7F260B93
	v_mul_f32_dpp v144, v28, v144 row_newbcast:12 row_mask:0xf bank_mask:0xf// 000000005A84: 0B2120FA FF015C1C
	v_mul_f32_dpp v145, v28, v145 row_newbcast:13 row_mask:0xf bank_mask:0xf// 000000005A8C: 0B2322FA FF015D1C
	v_mul_f32_dpp v146, v28, v146 row_newbcast:14 row_mask:0xf bank_mask:0xf// 000000005A94: 0B2524FA FF015E1C
	v_mul_f32_dpp v147, v28, v147 row_newbcast:15 row_mask:0xf bank_mask:0xf// 000000005A9C: 0B2726FA FF015F1C
	v_cvt_f32_i32_e32 v148, v148                               // 000000005AA4: 7F280B94
	v_cvt_f32_i32_e32 v149, v149                               // 000000005AA8: 7F2A0B95
	v_cvt_f32_i32_e32 v150, v150                               // 000000005AAC: 7F2C0B96
	v_cvt_f32_i32_e32 v151, v151                               // 000000005AB0: 7F2E0B97
	v_mul_f32_dpp v148, v29, v148 row_newbcast:0 row_mask:0xf bank_mask:0xf// 000000005AB4: 0B2928FA FF01501D
	v_mul_f32_dpp v149, v29, v149 row_newbcast:1 row_mask:0xf bank_mask:0xf// 000000005ABC: 0B2B2AFA FF01511D
	v_mul_f32_dpp v150, v29, v150 row_newbcast:2 row_mask:0xf bank_mask:0xf// 000000005AC4: 0B2D2CFA FF01521D
	v_mul_f32_dpp v151, v29, v151 row_newbcast:3 row_mask:0xf bank_mask:0xf// 000000005ACC: 0B2F2EFA FF01531D
	v_cvt_f32_i32_e32 v152, v152                               // 000000005AD4: 7F300B98
	v_cvt_f32_i32_e32 v153, v153                               // 000000005AD8: 7F320B99
	v_cvt_f32_i32_e32 v154, v154                               // 000000005ADC: 7F340B9A
	v_cvt_f32_i32_e32 v155, v155                               // 000000005AE0: 7F360B9B
	v_mul_f32_dpp v152, v29, v152 row_newbcast:0 row_mask:0xf bank_mask:0xf// 000000005AE4: 0B3130FA FF01501D
	v_mul_f32_dpp v153, v29, v153 row_newbcast:1 row_mask:0xf bank_mask:0xf// 000000005AEC: 0B3332FA FF01511D
	v_mul_f32_dpp v154, v29, v154 row_newbcast:2 row_mask:0xf bank_mask:0xf// 000000005AF4: 0B3534FA FF01521D
	v_mul_f32_dpp v155, v29, v155 row_newbcast:3 row_mask:0xf bank_mask:0xf// 000000005AFC: 0B3736FA FF01531D
	v_cvt_f32_i32_e32 v156, v156                               // 000000005B04: 7F380B9C
	v_cvt_f32_i32_e32 v157, v157                               // 000000005B08: 7F3A0B9D
	v_cvt_f32_i32_e32 v158, v158                               // 000000005B0C: 7F3C0B9E
	v_cvt_f32_i32_e32 v159, v159                               // 000000005B10: 7F3E0B9F
	v_mul_f32_dpp v156, v29, v156 row_newbcast:4 row_mask:0xf bank_mask:0xf// 000000005B14: 0B3938FA FF01541D
	v_mul_f32_dpp v157, v29, v157 row_newbcast:5 row_mask:0xf bank_mask:0xf// 000000005B1C: 0B3B3AFA FF01551D
	v_mul_f32_dpp v158, v29, v158 row_newbcast:6 row_mask:0xf bank_mask:0xf// 000000005B24: 0B3D3CFA FF01561D
	v_mul_f32_dpp v159, v29, v159 row_newbcast:7 row_mask:0xf bank_mask:0xf// 000000005B2C: 0B3F3EFA FF01571D
	v_cvt_f32_i32_e32 v160, v160                               // 000000005B34: 7F400BA0
	v_cvt_f32_i32_e32 v161, v161                               // 000000005B38: 7F420BA1
	v_cvt_f32_i32_e32 v162, v162                               // 000000005B3C: 7F440BA2
	v_cvt_f32_i32_e32 v163, v163                               // 000000005B40: 7F460BA3
	v_mul_f32_dpp v160, v29, v160 row_newbcast:4 row_mask:0xf bank_mask:0xf// 000000005B44: 0B4140FA FF01541D
	v_mul_f32_dpp v161, v29, v161 row_newbcast:5 row_mask:0xf bank_mask:0xf// 000000005B4C: 0B4342FA FF01551D
	v_mul_f32_dpp v162, v29, v162 row_newbcast:6 row_mask:0xf bank_mask:0xf// 000000005B54: 0B4544FA FF01561D
	v_mul_f32_dpp v163, v29, v163 row_newbcast:7 row_mask:0xf bank_mask:0xf// 000000005B5C: 0B4746FA FF01571D
	v_cvt_f32_i32_e32 v164, v164                               // 000000005B64: 7F480BA4
	v_cvt_f32_i32_e32 v165, v165                               // 000000005B68: 7F4A0BA5
	v_cvt_f32_i32_e32 v166, v166                               // 000000005B6C: 7F4C0BA6
	v_cvt_f32_i32_e32 v167, v167                               // 000000005B70: 7F4E0BA7
	v_mul_f32_dpp v164, v29, v164 row_newbcast:8 row_mask:0xf bank_mask:0xf// 000000005B74: 0B4948FA FF01581D
	v_mul_f32_dpp v165, v29, v165 row_newbcast:9 row_mask:0xf bank_mask:0xf// 000000005B7C: 0B4B4AFA FF01591D
	v_mul_f32_dpp v166, v29, v166 row_newbcast:10 row_mask:0xf bank_mask:0xf// 000000005B84: 0B4D4CFA FF015A1D
	v_mul_f32_dpp v167, v29, v167 row_newbcast:11 row_mask:0xf bank_mask:0xf// 000000005B8C: 0B4F4EFA FF015B1D
	v_cvt_f32_i32_e32 v168, v168                               // 000000005B94: 7F500BA8
	v_cvt_f32_i32_e32 v169, v169                               // 000000005B98: 7F520BA9
	v_cvt_f32_i32_e32 v170, v170                               // 000000005B9C: 7F540BAA
	v_cvt_f32_i32_e32 v171, v171                               // 000000005BA0: 7F560BAB
	v_mul_f32_dpp v168, v29, v168 row_newbcast:8 row_mask:0xf bank_mask:0xf// 000000005BA4: 0B5150FA FF01581D
	v_mul_f32_dpp v169, v29, v169 row_newbcast:9 row_mask:0xf bank_mask:0xf// 000000005BAC: 0B5352FA FF01591D
	v_mul_f32_dpp v170, v29, v170 row_newbcast:10 row_mask:0xf bank_mask:0xf// 000000005BB4: 0B5554FA FF015A1D
	v_mul_f32_dpp v171, v29, v171 row_newbcast:11 row_mask:0xf bank_mask:0xf// 000000005BBC: 0B5756FA FF015B1D
	v_cvt_f32_i32_e32 v172, v172                               // 000000005BC4: 7F580BAC
	v_cvt_f32_i32_e32 v173, v173                               // 000000005BC8: 7F5A0BAD
	v_cvt_f32_i32_e32 v174, v174                               // 000000005BCC: 7F5C0BAE
	v_cvt_f32_i32_e32 v175, v175                               // 000000005BD0: 7F5E0BAF
	v_mul_f32_dpp v172, v29, v172 row_newbcast:12 row_mask:0xf bank_mask:0xf// 000000005BD4: 0B5958FA FF015C1D
	v_mul_f32_dpp v173, v29, v173 row_newbcast:13 row_mask:0xf bank_mask:0xf// 000000005BDC: 0B5B5AFA FF015D1D
	v_mul_f32_dpp v174, v29, v174 row_newbcast:14 row_mask:0xf bank_mask:0xf// 000000005BE4: 0B5D5CFA FF015E1D
	v_mul_f32_dpp v175, v29, v175 row_newbcast:15 row_mask:0xf bank_mask:0xf// 000000005BEC: 0B5F5EFA FF015F1D
	v_cvt_f32_i32_e32 v176, v176                               // 000000005BF4: 7F600BB0
	v_cvt_f32_i32_e32 v177, v177                               // 000000005BF8: 7F620BB1
	v_cvt_f32_i32_e32 v178, v178                               // 000000005BFC: 7F640BB2
	v_cvt_f32_i32_e32 v179, v179                               // 000000005C00: 7F660BB3
	v_mul_f32_dpp v176, v29, v176 row_newbcast:12 row_mask:0xf bank_mask:0xf// 000000005C04: 0B6160FA FF015C1D
	v_mul_f32_dpp v177, v29, v177 row_newbcast:13 row_mask:0xf bank_mask:0xf// 000000005C0C: 0B6362FA FF015D1D
	v_mul_f32_dpp v178, v29, v178 row_newbcast:14 row_mask:0xf bank_mask:0xf// 000000005C14: 0B6564FA FF015E1D
	v_mul_f32_dpp v179, v29, v179 row_newbcast:15 row_mask:0xf bank_mask:0xf// 000000005C1C: 0B6766FA FF015F1D
	v_mov_b32_e32 v4, v33                                      // 000000005C24: 7E080321
	v_mov_b32_e32 v5, v4                                       // 000000005C28: 7E0A0304
	v_pk_mul_f32 v[52:53], v[4:5], v[52:53]                    // 000000005C2C: D3B14034 18026904
	v_pk_mul_f32 v[116:117], v[4:5], v[116:117]                // 000000005C34: D3B14074 1802E904
	v_pk_mul_f32 v[54:55], v[4:5], v[54:55]                    // 000000005C3C: D3B14036 18026D04
	v_pk_mul_f32 v[118:119], v[4:5], v[118:119]                // 000000005C44: D3B14076 1802ED04
	v_pk_mul_f32 v[60:61], v[4:5], v[60:61]                    // 000000005C4C: D3B1403C 18027904
	v_pk_mul_f32 v[124:125], v[4:5], v[124:125]                // 000000005C54: D3B1407C 1802F904
	v_pk_mul_f32 v[62:63], v[4:5], v[62:63]                    // 000000005C5C: D3B1403E 18027D04
	v_pk_mul_f32 v[126:127], v[4:5], v[126:127]                // 000000005C64: D3B1407E 1802FD04
	v_pk_mul_f32 v[68:69], v[4:5], v[68:69]                    // 000000005C6C: D3B14044 18028904
	v_pk_mul_f32 v[132:133], v[4:5], v[132:133]                // 000000005C74: D3B14084 18030904
	v_pk_mul_f32 v[70:71], v[4:5], v[70:71]                    // 000000005C7C: D3B14046 18028D04
	v_pk_mul_f32 v[134:135], v[4:5], v[134:135]                // 000000005C84: D3B14086 18030D04
	v_pk_mul_f32 v[76:77], v[4:5], v[76:77]                    // 000000005C8C: D3B1404C 18029904
	v_pk_mul_f32 v[140:141], v[4:5], v[140:141]                // 000000005C94: D3B1408C 18031904
	v_pk_mul_f32 v[78:79], v[4:5], v[78:79]                    // 000000005C9C: D3B1404E 18029D04
	v_pk_mul_f32 v[142:143], v[4:5], v[142:143]                // 000000005CA4: D3B1408E 18031D04
	v_pk_mul_f32 v[84:85], v[4:5], v[84:85]                    // 000000005CAC: D3B14054 1802A904
	v_pk_mul_f32 v[148:149], v[4:5], v[148:149]                // 000000005CB4: D3B14094 18032904
	v_pk_mul_f32 v[86:87], v[4:5], v[86:87]                    // 000000005CBC: D3B14056 1802AD04
	v_pk_mul_f32 v[150:151], v[4:5], v[150:151]                // 000000005CC4: D3B14096 18032D04
	v_pk_mul_f32 v[92:93], v[4:5], v[92:93]                    // 000000005CCC: D3B1405C 1802B904
	v_pk_mul_f32 v[156:157], v[4:5], v[156:157]                // 000000005CD4: D3B1409C 18033904
	v_pk_mul_f32 v[94:95], v[4:5], v[94:95]                    // 000000005CDC: D3B1405E 1802BD04
	v_pk_mul_f32 v[158:159], v[4:5], v[158:159]                // 000000005CE4: D3B1409E 18033D04
	v_pk_mul_f32 v[100:101], v[4:5], v[100:101]                // 000000005CEC: D3B14064 1802C904
	v_pk_mul_f32 v[164:165], v[4:5], v[164:165]                // 000000005CF4: D3B140A4 18034904
	v_pk_mul_f32 v[102:103], v[4:5], v[102:103]                // 000000005CFC: D3B14066 1802CD04
	v_pk_mul_f32 v[166:167], v[4:5], v[166:167]                // 000000005D04: D3B140A6 18034D04
	v_pk_mul_f32 v[108:109], v[4:5], v[108:109]                // 000000005D0C: D3B1406C 1802D904
	v_pk_mul_f32 v[172:173], v[4:5], v[172:173]                // 000000005D14: D3B140AC 18035904
	v_pk_mul_f32 v[110:111], v[4:5], v[110:111]                // 000000005D1C: D3B1406E 1802DD04
	v_pk_mul_f32 v[174:175], v[4:5], v[174:175]                // 000000005D24: D3B140AE 18035D04
	v_mov_b32_e32 v4, v34                                      // 000000005D2C: 7E080322
	v_mov_b32_e32 v5, v4                                       // 000000005D30: 7E0A0304
	v_pk_mul_f32 v[56:57], v[4:5], v[56:57]                    // 000000005D34: D3B14038 18027104
	v_pk_mul_f32 v[120:121], v[4:5], v[120:121]                // 000000005D3C: D3B14078 1802F104
	v_pk_mul_f32 v[58:59], v[4:5], v[58:59]                    // 000000005D44: D3B1403A 18027504
	v_pk_mul_f32 v[122:123], v[4:5], v[122:123]                // 000000005D4C: D3B1407A 1802F504
	v_pk_mul_f32 v[64:65], v[4:5], v[64:65]                    // 000000005D54: D3B14040 18028104
	v_pk_mul_f32 v[128:129], v[4:5], v[128:129]                // 000000005D5C: D3B14080 18030104
	v_pk_mul_f32 v[66:67], v[4:5], v[66:67]                    // 000000005D64: D3B14042 18028504
	v_pk_mul_f32 v[130:131], v[4:5], v[130:131]                // 000000005D6C: D3B14082 18030504
	v_pk_mul_f32 v[72:73], v[4:5], v[72:73]                    // 000000005D74: D3B14048 18029104
	v_pk_mul_f32 v[136:137], v[4:5], v[136:137]                // 000000005D7C: D3B14088 18031104
	v_pk_mul_f32 v[74:75], v[4:5], v[74:75]                    // 000000005D84: D3B1404A 18029504
	v_pk_mul_f32 v[138:139], v[4:5], v[138:139]                // 000000005D8C: D3B1408A 18031504
	v_pk_mul_f32 v[80:81], v[4:5], v[80:81]                    // 000000005D94: D3B14050 1802A104
	v_pk_mul_f32 v[144:145], v[4:5], v[144:145]                // 000000005D9C: D3B14090 18032104
	v_pk_mul_f32 v[82:83], v[4:5], v[82:83]                    // 000000005DA4: D3B14052 1802A504
	v_pk_mul_f32 v[146:147], v[4:5], v[146:147]                // 000000005DAC: D3B14092 18032504
	v_pk_mul_f32 v[88:89], v[4:5], v[88:89]                    // 000000005DB4: D3B14058 1802B104
	v_pk_mul_f32 v[152:153], v[4:5], v[152:153]                // 000000005DBC: D3B14098 18033104
	v_pk_mul_f32 v[90:91], v[4:5], v[90:91]                    // 000000005DC4: D3B1405A 1802B504
	v_pk_mul_f32 v[154:155], v[4:5], v[154:155]                // 000000005DCC: D3B1409A 18033504
	v_pk_mul_f32 v[96:97], v[4:5], v[96:97]                    // 000000005DD4: D3B14060 1802C104
	v_pk_mul_f32 v[160:161], v[4:5], v[160:161]                // 000000005DDC: D3B140A0 18034104
	v_pk_mul_f32 v[98:99], v[4:5], v[98:99]                    // 000000005DE4: D3B14062 1802C504
	v_pk_mul_f32 v[162:163], v[4:5], v[162:163]                // 000000005DEC: D3B140A2 18034504
	v_pk_mul_f32 v[104:105], v[4:5], v[104:105]                // 000000005DF4: D3B14068 1802D104
	v_pk_mul_f32 v[168:169], v[4:5], v[168:169]                // 000000005DFC: D3B140A8 18035104
	v_pk_mul_f32 v[106:107], v[4:5], v[106:107]                // 000000005E04: D3B1406A 1802D504
	v_pk_mul_f32 v[170:171], v[4:5], v[170:171]                // 000000005E0C: D3B140AA 18035504
	v_pk_mul_f32 v[112:113], v[4:5], v[112:113]                // 000000005E14: D3B14070 1802E104
	v_pk_mul_f32 v[176:177], v[4:5], v[176:177]                // 000000005E1C: D3B140B0 18036104
	v_pk_mul_f32 v[114:115], v[4:5], v[114:115]                // 000000005E24: D3B14072 1802E504
	v_pk_mul_f32 v[178:179], v[4:5], v[178:179]                // 000000005E2C: D3B140B2 18036504
	s_cmp_eq_u32 s88, 0                                        // 000000005E34: BF068058
	s_cbranch_scc0 label_14A8                                  // 000000005E38: BF840799
	s_cmp_eq_u32 s89, 0                                        // 000000005E3C: BF068059
	s_cbranch_scc1 label_0F96                                  // 000000005E40: BF850285
	v_mov_b32_e32 v8, v1                                       // 000000005E44: 7E100301
	v_mov_b32_e32 v9, v1                                       // 000000005E48: 7E120301
	s_mov_b32 s60, s6                                          // 000000005E4C: BEBC0006
	s_mov_b32 s61, s6                                          // 000000005E50: BEBD0006
	v_pk_mul_f32 v[4:5], v[52:53], v[52:53]                    // 000000005E54: D3B14004 18026934
	v_pk_mul_f32 v[6:7], v[54:55], v[54:55]                    // 000000005E5C: D3B14006 18026D36
	v_pk_fma_f32 v[4:5], v[4:5], s[78:79], v[8:9]              // 000000005E64: D3B04004 1C209D04
	v_pk_fma_f32 v[6:7], v[6:7], s[78:79], v[8:9]              // 000000005E6C: D3B04006 1C209D06
	v_pk_mul_f32 v[4:5], v[4:5], v[52:53]                      // 000000005E74: D3B14004 18026904
	v_pk_mul_f32 v[6:7], v[6:7], v[54:55]                      // 000000005E7C: D3B14006 18026D06
	v_pk_mul_f32 v[4:5], v[4:5], s[60:61]                      // 000000005E84: D3B14004 18007904
	v_pk_mul_f32 v[6:7], v[6:7], s[60:61]                      // 000000005E8C: D3B14006 18007906
	v_exp_f32_e32 v4, v4                                       // 000000005E94: 7E084104
	v_exp_f32_e32 v5, v5                                       // 000000005E98: 7E0A4105
	v_exp_f32_e32 v6, v6                                       // 000000005E9C: 7E0C4106
	v_exp_f32_e32 v7, v7                                       // 000000005EA0: 7E0E4107
	v_add_f32_e64 v4, v4, 1.0                                  // 000000005EA4: D1010004 0001E504
	v_add_f32_e64 v5, v5, 1.0                                  // 000000005EAC: D1010005 0001E505
	v_add_f32_e64 v6, v6, 1.0                                  // 000000005EB4: D1010006 0001E506
	v_add_f32_e64 v7, v7, 1.0                                  // 000000005EBC: D1010007 0001E507
	v_rcp_f32_e32 v4, v4                                       // 000000005EC4: 7E084504
	v_rcp_f32_e32 v5, v5                                       // 000000005EC8: 7E0A4505
	v_rcp_f32_e32 v6, v6                                       // 000000005ECC: 7E0C4506
	v_rcp_f32_e32 v7, v7                                       // 000000005ED0: 7E0E4507
	v_mul_f32_e32 v52, v52, v4                                 // 000000005ED4: 0A680934
	v_mul_f32_e32 v53, v53, v5                                 // 000000005ED8: 0A6A0B35
	v_mul_f32_e32 v54, v54, v6                                 // 000000005EDC: 0A6C0D36
	v_mul_f32_e32 v55, v55, v7                                 // 000000005EE0: 0A6E0F37
	v_mul_f32_e32 v52, v52, v116                               // 000000005EE4: 0A68E934
	v_mul_f32_e32 v53, v53, v117                               // 000000005EE8: 0A6AEB35
	v_mul_f32_e32 v54, v54, v118                               // 000000005EEC: 0A6CED36
	v_mul_f32_e32 v55, v55, v119                               // 000000005EF0: 0A6EEF37
	v_pk_mul_f32 v[4:5], v[56:57], v[56:57]                    // 000000005EF4: D3B14004 18027138
	v_pk_mul_f32 v[6:7], v[58:59], v[58:59]                    // 000000005EFC: D3B14006 1802753A
	v_pk_fma_f32 v[4:5], v[4:5], s[78:79], v[8:9]              // 000000005F04: D3B04004 1C209D04
	v_pk_fma_f32 v[6:7], v[6:7], s[78:79], v[8:9]              // 000000005F0C: D3B04006 1C209D06
	v_pk_mul_f32 v[4:5], v[4:5], v[56:57]                      // 000000005F14: D3B14004 18027104
	v_pk_mul_f32 v[6:7], v[6:7], v[58:59]                      // 000000005F1C: D3B14006 18027506
	v_pk_mul_f32 v[4:5], v[4:5], s[60:61]                      // 000000005F24: D3B14004 18007904
	v_pk_mul_f32 v[6:7], v[6:7], s[60:61]                      // 000000005F2C: D3B14006 18007906
	v_exp_f32_e32 v4, v4                                       // 000000005F34: 7E084104
	v_exp_f32_e32 v5, v5                                       // 000000005F38: 7E0A4105
	v_exp_f32_e32 v6, v6                                       // 000000005F3C: 7E0C4106
	v_exp_f32_e32 v7, v7                                       // 000000005F40: 7E0E4107
	v_add_f32_e64 v4, v4, 1.0                                  // 000000005F44: D1010004 0001E504
	v_add_f32_e64 v5, v5, 1.0                                  // 000000005F4C: D1010005 0001E505
	v_add_f32_e64 v6, v6, 1.0                                  // 000000005F54: D1010006 0001E506
	v_add_f32_e64 v7, v7, 1.0                                  // 000000005F5C: D1010007 0001E507
	v_rcp_f32_e32 v4, v4                                       // 000000005F64: 7E084504
	v_rcp_f32_e32 v5, v5                                       // 000000005F68: 7E0A4505
	v_rcp_f32_e32 v6, v6                                       // 000000005F6C: 7E0C4506
	v_rcp_f32_e32 v7, v7                                       // 000000005F70: 7E0E4507
	v_mul_f32_e32 v56, v56, v4                                 // 000000005F74: 0A700938
	v_mul_f32_e32 v57, v57, v5                                 // 000000005F78: 0A720B39
	v_mul_f32_e32 v58, v58, v6                                 // 000000005F7C: 0A740D3A
	v_mul_f32_e32 v59, v59, v7                                 // 000000005F80: 0A760F3B
	v_mul_f32_e32 v56, v56, v120                               // 000000005F84: 0A70F138
	v_mul_f32_e32 v57, v57, v121                               // 000000005F88: 0A72F339
	v_mul_f32_e32 v58, v58, v122                               // 000000005F8C: 0A74F53A
	v_mul_f32_e32 v59, v59, v123                               // 000000005F90: 0A76F73B
	v_pk_mul_f32 v[4:5], v[60:61], v[60:61]                    // 000000005F94: D3B14004 1802793C
	v_pk_mul_f32 v[6:7], v[62:63], v[62:63]                    // 000000005F9C: D3B14006 18027D3E
	v_pk_fma_f32 v[4:5], v[4:5], s[78:79], v[8:9]              // 000000005FA4: D3B04004 1C209D04
	v_pk_fma_f32 v[6:7], v[6:7], s[78:79], v[8:9]              // 000000005FAC: D3B04006 1C209D06
	v_pk_mul_f32 v[4:5], v[4:5], v[60:61]                      // 000000005FB4: D3B14004 18027904
	v_pk_mul_f32 v[6:7], v[6:7], v[62:63]                      // 000000005FBC: D3B14006 18027D06
	v_pk_mul_f32 v[4:5], v[4:5], s[60:61]                      // 000000005FC4: D3B14004 18007904
	v_pk_mul_f32 v[6:7], v[6:7], s[60:61]                      // 000000005FCC: D3B14006 18007906
	v_exp_f32_e32 v4, v4                                       // 000000005FD4: 7E084104
	v_exp_f32_e32 v5, v5                                       // 000000005FD8: 7E0A4105
	v_exp_f32_e32 v6, v6                                       // 000000005FDC: 7E0C4106
	v_exp_f32_e32 v7, v7                                       // 000000005FE0: 7E0E4107
	v_add_f32_e64 v4, v4, 1.0                                  // 000000005FE4: D1010004 0001E504
	v_add_f32_e64 v5, v5, 1.0                                  // 000000005FEC: D1010005 0001E505
	v_add_f32_e64 v6, v6, 1.0                                  // 000000005FF4: D1010006 0001E506
	v_add_f32_e64 v7, v7, 1.0                                  // 000000005FFC: D1010007 0001E507
	v_rcp_f32_e32 v4, v4                                       // 000000006004: 7E084504
	v_rcp_f32_e32 v5, v5                                       // 000000006008: 7E0A4505
	v_rcp_f32_e32 v6, v6                                       // 00000000600C: 7E0C4506
	v_rcp_f32_e32 v7, v7                                       // 000000006010: 7E0E4507
	v_mul_f32_e32 v60, v60, v4                                 // 000000006014: 0A78093C
	v_mul_f32_e32 v61, v61, v5                                 // 000000006018: 0A7A0B3D
	v_mul_f32_e32 v62, v62, v6                                 // 00000000601C: 0A7C0D3E
	v_mul_f32_e32 v63, v63, v7                                 // 000000006020: 0A7E0F3F
	v_mul_f32_e32 v60, v60, v124                               // 000000006024: 0A78F93C
	v_mul_f32_e32 v61, v61, v125                               // 000000006028: 0A7AFB3D
	v_mul_f32_e32 v62, v62, v126                               // 00000000602C: 0A7CFD3E
	v_mul_f32_e32 v63, v63, v127                               // 000000006030: 0A7EFF3F
	v_pk_mul_f32 v[4:5], v[64:65], v[64:65]                    // 000000006034: D3B14004 18028140
	v_pk_mul_f32 v[6:7], v[66:67], v[66:67]                    // 00000000603C: D3B14006 18028542
	v_pk_fma_f32 v[4:5], v[4:5], s[78:79], v[8:9]              // 000000006044: D3B04004 1C209D04
	v_pk_fma_f32 v[6:7], v[6:7], s[78:79], v[8:9]              // 00000000604C: D3B04006 1C209D06
	v_pk_mul_f32 v[4:5], v[4:5], v[64:65]                      // 000000006054: D3B14004 18028104
	v_pk_mul_f32 v[6:7], v[6:7], v[66:67]                      // 00000000605C: D3B14006 18028506
	v_pk_mul_f32 v[4:5], v[4:5], s[60:61]                      // 000000006064: D3B14004 18007904
	v_pk_mul_f32 v[6:7], v[6:7], s[60:61]                      // 00000000606C: D3B14006 18007906
	v_exp_f32_e32 v4, v4                                       // 000000006074: 7E084104
	v_exp_f32_e32 v5, v5                                       // 000000006078: 7E0A4105
	v_exp_f32_e32 v6, v6                                       // 00000000607C: 7E0C4106
	v_exp_f32_e32 v7, v7                                       // 000000006080: 7E0E4107
	v_add_f32_e64 v4, v4, 1.0                                  // 000000006084: D1010004 0001E504
	v_add_f32_e64 v5, v5, 1.0                                  // 00000000608C: D1010005 0001E505
	v_add_f32_e64 v6, v6, 1.0                                  // 000000006094: D1010006 0001E506
	v_add_f32_e64 v7, v7, 1.0                                  // 00000000609C: D1010007 0001E507
	v_rcp_f32_e32 v4, v4                                       // 0000000060A4: 7E084504
	v_rcp_f32_e32 v5, v5                                       // 0000000060A8: 7E0A4505
	v_rcp_f32_e32 v6, v6                                       // 0000000060AC: 7E0C4506
	v_rcp_f32_e32 v7, v7                                       // 0000000060B0: 7E0E4507
	v_mul_f32_e32 v64, v64, v4                                 // 0000000060B4: 0A800940
	v_mul_f32_e32 v65, v65, v5                                 // 0000000060B8: 0A820B41
	v_mul_f32_e32 v66, v66, v6                                 // 0000000060BC: 0A840D42
	v_mul_f32_e32 v67, v67, v7                                 // 0000000060C0: 0A860F43
	v_mul_f32_e32 v64, v64, v128                               // 0000000060C4: 0A810140
	v_mul_f32_e32 v65, v65, v129                               // 0000000060C8: 0A830341
	v_mul_f32_e32 v66, v66, v130                               // 0000000060CC: 0A850542
	v_mul_f32_e32 v67, v67, v131                               // 0000000060D0: 0A870743
	v_pk_mul_f32 v[4:5], v[68:69], v[68:69]                    // 0000000060D4: D3B14004 18028944
	v_pk_mul_f32 v[6:7], v[70:71], v[70:71]                    // 0000000060DC: D3B14006 18028D46
	v_pk_fma_f32 v[4:5], v[4:5], s[78:79], v[8:9]              // 0000000060E4: D3B04004 1C209D04
	v_pk_fma_f32 v[6:7], v[6:7], s[78:79], v[8:9]              // 0000000060EC: D3B04006 1C209D06
	v_pk_mul_f32 v[4:5], v[4:5], v[68:69]                      // 0000000060F4: D3B14004 18028904
	v_pk_mul_f32 v[6:7], v[6:7], v[70:71]                      // 0000000060FC: D3B14006 18028D06
	v_pk_mul_f32 v[4:5], v[4:5], s[60:61]                      // 000000006104: D3B14004 18007904
	v_pk_mul_f32 v[6:7], v[6:7], s[60:61]                      // 00000000610C: D3B14006 18007906
	v_exp_f32_e32 v4, v4                                       // 000000006114: 7E084104
	v_exp_f32_e32 v5, v5                                       // 000000006118: 7E0A4105
	v_exp_f32_e32 v6, v6                                       // 00000000611C: 7E0C4106
	v_exp_f32_e32 v7, v7                                       // 000000006120: 7E0E4107
	v_add_f32_e64 v4, v4, 1.0                                  // 000000006124: D1010004 0001E504
	v_add_f32_e64 v5, v5, 1.0                                  // 00000000612C: D1010005 0001E505
	v_add_f32_e64 v6, v6, 1.0                                  // 000000006134: D1010006 0001E506
	v_add_f32_e64 v7, v7, 1.0                                  // 00000000613C: D1010007 0001E507
	v_rcp_f32_e32 v4, v4                                       // 000000006144: 7E084504
	v_rcp_f32_e32 v5, v5                                       // 000000006148: 7E0A4505
	v_rcp_f32_e32 v6, v6                                       // 00000000614C: 7E0C4506
	v_rcp_f32_e32 v7, v7                                       // 000000006150: 7E0E4507
	v_mul_f32_e32 v68, v68, v4                                 // 000000006154: 0A880944
	v_mul_f32_e32 v69, v69, v5                                 // 000000006158: 0A8A0B45
	v_mul_f32_e32 v70, v70, v6                                 // 00000000615C: 0A8C0D46
	v_mul_f32_e32 v71, v71, v7                                 // 000000006160: 0A8E0F47
	v_mul_f32_e32 v68, v68, v132                               // 000000006164: 0A890944
	v_mul_f32_e32 v69, v69, v133                               // 000000006168: 0A8B0B45
	v_mul_f32_e32 v70, v70, v134                               // 00000000616C: 0A8D0D46
	v_mul_f32_e32 v71, v71, v135                               // 000000006170: 0A8F0F47
	v_pk_mul_f32 v[4:5], v[72:73], v[72:73]                    // 000000006174: D3B14004 18029148
	v_pk_mul_f32 v[6:7], v[74:75], v[74:75]                    // 00000000617C: D3B14006 1802954A
	v_pk_fma_f32 v[4:5], v[4:5], s[78:79], v[8:9]              // 000000006184: D3B04004 1C209D04
	v_pk_fma_f32 v[6:7], v[6:7], s[78:79], v[8:9]              // 00000000618C: D3B04006 1C209D06
	v_pk_mul_f32 v[4:5], v[4:5], v[72:73]                      // 000000006194: D3B14004 18029104
	v_pk_mul_f32 v[6:7], v[6:7], v[74:75]                      // 00000000619C: D3B14006 18029506
	v_pk_mul_f32 v[4:5], v[4:5], s[60:61]                      // 0000000061A4: D3B14004 18007904
	v_pk_mul_f32 v[6:7], v[6:7], s[60:61]                      // 0000000061AC: D3B14006 18007906
	v_exp_f32_e32 v4, v4                                       // 0000000061B4: 7E084104
	v_exp_f32_e32 v5, v5                                       // 0000000061B8: 7E0A4105
	v_exp_f32_e32 v6, v6                                       // 0000000061BC: 7E0C4106
	v_exp_f32_e32 v7, v7                                       // 0000000061C0: 7E0E4107
	v_add_f32_e64 v4, v4, 1.0                                  // 0000000061C4: D1010004 0001E504
	v_add_f32_e64 v5, v5, 1.0                                  // 0000000061CC: D1010005 0001E505
	v_add_f32_e64 v6, v6, 1.0                                  // 0000000061D4: D1010006 0001E506
	v_add_f32_e64 v7, v7, 1.0                                  // 0000000061DC: D1010007 0001E507
	v_rcp_f32_e32 v4, v4                                       // 0000000061E4: 7E084504
	v_rcp_f32_e32 v5, v5                                       // 0000000061E8: 7E0A4505
	v_rcp_f32_e32 v6, v6                                       // 0000000061EC: 7E0C4506
	v_rcp_f32_e32 v7, v7                                       // 0000000061F0: 7E0E4507
	v_mul_f32_e32 v72, v72, v4                                 // 0000000061F4: 0A900948
	v_mul_f32_e32 v73, v73, v5                                 // 0000000061F8: 0A920B49
	v_mul_f32_e32 v74, v74, v6                                 // 0000000061FC: 0A940D4A
	v_mul_f32_e32 v75, v75, v7                                 // 000000006200: 0A960F4B
	v_mul_f32_e32 v72, v72, v136                               // 000000006204: 0A911148
	v_mul_f32_e32 v73, v73, v137                               // 000000006208: 0A931349
	v_mul_f32_e32 v74, v74, v138                               // 00000000620C: 0A95154A
	v_mul_f32_e32 v75, v75, v139                               // 000000006210: 0A97174B
	v_pk_mul_f32 v[4:5], v[76:77], v[76:77]                    // 000000006214: D3B14004 1802994C
	v_pk_mul_f32 v[6:7], v[78:79], v[78:79]                    // 00000000621C: D3B14006 18029D4E
	v_pk_fma_f32 v[4:5], v[4:5], s[78:79], v[8:9]              // 000000006224: D3B04004 1C209D04
	v_pk_fma_f32 v[6:7], v[6:7], s[78:79], v[8:9]              // 00000000622C: D3B04006 1C209D06
	v_pk_mul_f32 v[4:5], v[4:5], v[76:77]                      // 000000006234: D3B14004 18029904
	v_pk_mul_f32 v[6:7], v[6:7], v[78:79]                      // 00000000623C: D3B14006 18029D06
	v_pk_mul_f32 v[4:5], v[4:5], s[60:61]                      // 000000006244: D3B14004 18007904
	v_pk_mul_f32 v[6:7], v[6:7], s[60:61]                      // 00000000624C: D3B14006 18007906
	v_exp_f32_e32 v4, v4                                       // 000000006254: 7E084104
	v_exp_f32_e32 v5, v5                                       // 000000006258: 7E0A4105
	v_exp_f32_e32 v6, v6                                       // 00000000625C: 7E0C4106
	v_exp_f32_e32 v7, v7                                       // 000000006260: 7E0E4107
	v_add_f32_e64 v4, v4, 1.0                                  // 000000006264: D1010004 0001E504
	v_add_f32_e64 v5, v5, 1.0                                  // 00000000626C: D1010005 0001E505
	v_add_f32_e64 v6, v6, 1.0                                  // 000000006274: D1010006 0001E506
	v_add_f32_e64 v7, v7, 1.0                                  // 00000000627C: D1010007 0001E507
	v_rcp_f32_e32 v4, v4                                       // 000000006284: 7E084504
	v_rcp_f32_e32 v5, v5                                       // 000000006288: 7E0A4505
	v_rcp_f32_e32 v6, v6                                       // 00000000628C: 7E0C4506
	v_rcp_f32_e32 v7, v7                                       // 000000006290: 7E0E4507
	v_mul_f32_e32 v76, v76, v4                                 // 000000006294: 0A98094C
	v_mul_f32_e32 v77, v77, v5                                 // 000000006298: 0A9A0B4D
	v_mul_f32_e32 v78, v78, v6                                 // 00000000629C: 0A9C0D4E
	v_mul_f32_e32 v79, v79, v7                                 // 0000000062A0: 0A9E0F4F
	v_mul_f32_e32 v76, v76, v140                               // 0000000062A4: 0A99194C
	v_mul_f32_e32 v77, v77, v141                               // 0000000062A8: 0A9B1B4D
	v_mul_f32_e32 v78, v78, v142                               // 0000000062AC: 0A9D1D4E
	v_mul_f32_e32 v79, v79, v143                               // 0000000062B0: 0A9F1F4F
	v_pk_mul_f32 v[4:5], v[80:81], v[80:81]                    // 0000000062B4: D3B14004 1802A150
	v_pk_mul_f32 v[6:7], v[82:83], v[82:83]                    // 0000000062BC: D3B14006 1802A552
	v_pk_fma_f32 v[4:5], v[4:5], s[78:79], v[8:9]              // 0000000062C4: D3B04004 1C209D04
	v_pk_fma_f32 v[6:7], v[6:7], s[78:79], v[8:9]              // 0000000062CC: D3B04006 1C209D06
	v_pk_mul_f32 v[4:5], v[4:5], v[80:81]                      // 0000000062D4: D3B14004 1802A104
	v_pk_mul_f32 v[6:7], v[6:7], v[82:83]                      // 0000000062DC: D3B14006 1802A506
	v_pk_mul_f32 v[4:5], v[4:5], s[60:61]                      // 0000000062E4: D3B14004 18007904
	v_pk_mul_f32 v[6:7], v[6:7], s[60:61]                      // 0000000062EC: D3B14006 18007906
	v_exp_f32_e32 v4, v4                                       // 0000000062F4: 7E084104
	v_exp_f32_e32 v5, v5                                       // 0000000062F8: 7E0A4105
	v_exp_f32_e32 v6, v6                                       // 0000000062FC: 7E0C4106
	v_exp_f32_e32 v7, v7                                       // 000000006300: 7E0E4107
	v_add_f32_e64 v4, v4, 1.0                                  // 000000006304: D1010004 0001E504
	v_add_f32_e64 v5, v5, 1.0                                  // 00000000630C: D1010005 0001E505
	v_add_f32_e64 v6, v6, 1.0                                  // 000000006314: D1010006 0001E506
	v_add_f32_e64 v7, v7, 1.0                                  // 00000000631C: D1010007 0001E507
	v_rcp_f32_e32 v4, v4                                       // 000000006324: 7E084504
	v_rcp_f32_e32 v5, v5                                       // 000000006328: 7E0A4505
	v_rcp_f32_e32 v6, v6                                       // 00000000632C: 7E0C4506
	v_rcp_f32_e32 v7, v7                                       // 000000006330: 7E0E4507
	v_mul_f32_e32 v80, v80, v4                                 // 000000006334: 0AA00950
	v_mul_f32_e32 v81, v81, v5                                 // 000000006338: 0AA20B51
	v_mul_f32_e32 v82, v82, v6                                 // 00000000633C: 0AA40D52
	v_mul_f32_e32 v83, v83, v7                                 // 000000006340: 0AA60F53
	v_mul_f32_e32 v80, v80, v144                               // 000000006344: 0AA12150
	v_mul_f32_e32 v81, v81, v145                               // 000000006348: 0AA32351
	v_mul_f32_e32 v82, v82, v146                               // 00000000634C: 0AA52552
	v_mul_f32_e32 v83, v83, v147                               // 000000006350: 0AA72753
	v_pk_mul_f32 v[4:5], v[84:85], v[84:85]                    // 000000006354: D3B14004 1802A954
	v_pk_mul_f32 v[6:7], v[86:87], v[86:87]                    // 00000000635C: D3B14006 1802AD56
	v_pk_fma_f32 v[4:5], v[4:5], s[78:79], v[8:9]              // 000000006364: D3B04004 1C209D04
	v_pk_fma_f32 v[6:7], v[6:7], s[78:79], v[8:9]              // 00000000636C: D3B04006 1C209D06
	v_pk_mul_f32 v[4:5], v[4:5], v[84:85]                      // 000000006374: D3B14004 1802A904
	v_pk_mul_f32 v[6:7], v[6:7], v[86:87]                      // 00000000637C: D3B14006 1802AD06
	v_pk_mul_f32 v[4:5], v[4:5], s[60:61]                      // 000000006384: D3B14004 18007904
	v_pk_mul_f32 v[6:7], v[6:7], s[60:61]                      // 00000000638C: D3B14006 18007906
	v_exp_f32_e32 v4, v4                                       // 000000006394: 7E084104
	v_exp_f32_e32 v5, v5                                       // 000000006398: 7E0A4105
	v_exp_f32_e32 v6, v6                                       // 00000000639C: 7E0C4106
	v_exp_f32_e32 v7, v7                                       // 0000000063A0: 7E0E4107
	v_add_f32_e64 v4, v4, 1.0                                  // 0000000063A4: D1010004 0001E504
	v_add_f32_e64 v5, v5, 1.0                                  // 0000000063AC: D1010005 0001E505
	v_add_f32_e64 v6, v6, 1.0                                  // 0000000063B4: D1010006 0001E506
	v_add_f32_e64 v7, v7, 1.0                                  // 0000000063BC: D1010007 0001E507
	v_rcp_f32_e32 v4, v4                                       // 0000000063C4: 7E084504
	v_rcp_f32_e32 v5, v5                                       // 0000000063C8: 7E0A4505
	v_rcp_f32_e32 v6, v6                                       // 0000000063CC: 7E0C4506
	v_rcp_f32_e32 v7, v7                                       // 0000000063D0: 7E0E4507
	v_mul_f32_e32 v84, v84, v4                                 // 0000000063D4: 0AA80954
	v_mul_f32_e32 v85, v85, v5                                 // 0000000063D8: 0AAA0B55
	v_mul_f32_e32 v86, v86, v6                                 // 0000000063DC: 0AAC0D56
	v_mul_f32_e32 v87, v87, v7                                 // 0000000063E0: 0AAE0F57
	v_mul_f32_e32 v84, v84, v148                               // 0000000063E4: 0AA92954
	v_mul_f32_e32 v85, v85, v149                               // 0000000063E8: 0AAB2B55
	v_mul_f32_e32 v86, v86, v150                               // 0000000063EC: 0AAD2D56
	v_mul_f32_e32 v87, v87, v151                               // 0000000063F0: 0AAF2F57
	v_pk_mul_f32 v[4:5], v[88:89], v[88:89]                    // 0000000063F4: D3B14004 1802B158
	v_pk_mul_f32 v[6:7], v[90:91], v[90:91]                    // 0000000063FC: D3B14006 1802B55A
	v_pk_fma_f32 v[4:5], v[4:5], s[78:79], v[8:9]              // 000000006404: D3B04004 1C209D04
	v_pk_fma_f32 v[6:7], v[6:7], s[78:79], v[8:9]              // 00000000640C: D3B04006 1C209D06
	v_pk_mul_f32 v[4:5], v[4:5], v[88:89]                      // 000000006414: D3B14004 1802B104
	v_pk_mul_f32 v[6:7], v[6:7], v[90:91]                      // 00000000641C: D3B14006 1802B506
	v_pk_mul_f32 v[4:5], v[4:5], s[60:61]                      // 000000006424: D3B14004 18007904
	v_pk_mul_f32 v[6:7], v[6:7], s[60:61]                      // 00000000642C: D3B14006 18007906
	v_exp_f32_e32 v4, v4                                       // 000000006434: 7E084104
	v_exp_f32_e32 v5, v5                                       // 000000006438: 7E0A4105
	v_exp_f32_e32 v6, v6                                       // 00000000643C: 7E0C4106
	v_exp_f32_e32 v7, v7                                       // 000000006440: 7E0E4107
	v_add_f32_e64 v4, v4, 1.0                                  // 000000006444: D1010004 0001E504
	v_add_f32_e64 v5, v5, 1.0                                  // 00000000644C: D1010005 0001E505
	v_add_f32_e64 v6, v6, 1.0                                  // 000000006454: D1010006 0001E506
	v_add_f32_e64 v7, v7, 1.0                                  // 00000000645C: D1010007 0001E507
	v_rcp_f32_e32 v4, v4                                       // 000000006464: 7E084504
	v_rcp_f32_e32 v5, v5                                       // 000000006468: 7E0A4505
	v_rcp_f32_e32 v6, v6                                       // 00000000646C: 7E0C4506
	v_rcp_f32_e32 v7, v7                                       // 000000006470: 7E0E4507
	v_mul_f32_e32 v88, v88, v4                                 // 000000006474: 0AB00958
	v_mul_f32_e32 v89, v89, v5                                 // 000000006478: 0AB20B59
	v_mul_f32_e32 v90, v90, v6                                 // 00000000647C: 0AB40D5A
	v_mul_f32_e32 v91, v91, v7                                 // 000000006480: 0AB60F5B
	v_mul_f32_e32 v88, v88, v152                               // 000000006484: 0AB13158
	v_mul_f32_e32 v89, v89, v153                               // 000000006488: 0AB33359
	v_mul_f32_e32 v90, v90, v154                               // 00000000648C: 0AB5355A
	v_mul_f32_e32 v91, v91, v155                               // 000000006490: 0AB7375B
	v_pk_mul_f32 v[4:5], v[92:93], v[92:93]                    // 000000006494: D3B14004 1802B95C
	v_pk_mul_f32 v[6:7], v[94:95], v[94:95]                    // 00000000649C: D3B14006 1802BD5E
	v_pk_fma_f32 v[4:5], v[4:5], s[78:79], v[8:9]              // 0000000064A4: D3B04004 1C209D04
	v_pk_fma_f32 v[6:7], v[6:7], s[78:79], v[8:9]              // 0000000064AC: D3B04006 1C209D06
	v_pk_mul_f32 v[4:5], v[4:5], v[92:93]                      // 0000000064B4: D3B14004 1802B904
	v_pk_mul_f32 v[6:7], v[6:7], v[94:95]                      // 0000000064BC: D3B14006 1802BD06
	v_pk_mul_f32 v[4:5], v[4:5], s[60:61]                      // 0000000064C4: D3B14004 18007904
	v_pk_mul_f32 v[6:7], v[6:7], s[60:61]                      // 0000000064CC: D3B14006 18007906
	v_exp_f32_e32 v4, v4                                       // 0000000064D4: 7E084104
	v_exp_f32_e32 v5, v5                                       // 0000000064D8: 7E0A4105
	v_exp_f32_e32 v6, v6                                       // 0000000064DC: 7E0C4106
	v_exp_f32_e32 v7, v7                                       // 0000000064E0: 7E0E4107
	v_add_f32_e64 v4, v4, 1.0                                  // 0000000064E4: D1010004 0001E504
	v_add_f32_e64 v5, v5, 1.0                                  // 0000000064EC: D1010005 0001E505
	v_add_f32_e64 v6, v6, 1.0                                  // 0000000064F4: D1010006 0001E506
	v_add_f32_e64 v7, v7, 1.0                                  // 0000000064FC: D1010007 0001E507
	v_rcp_f32_e32 v4, v4                                       // 000000006504: 7E084504
	v_rcp_f32_e32 v5, v5                                       // 000000006508: 7E0A4505
	v_rcp_f32_e32 v6, v6                                       // 00000000650C: 7E0C4506
	v_rcp_f32_e32 v7, v7                                       // 000000006510: 7E0E4507
	v_mul_f32_e32 v92, v92, v4                                 // 000000006514: 0AB8095C
	v_mul_f32_e32 v93, v93, v5                                 // 000000006518: 0ABA0B5D
	v_mul_f32_e32 v94, v94, v6                                 // 00000000651C: 0ABC0D5E
	v_mul_f32_e32 v95, v95, v7                                 // 000000006520: 0ABE0F5F
	v_mul_f32_e32 v92, v92, v156                               // 000000006524: 0AB9395C
	v_mul_f32_e32 v93, v93, v157                               // 000000006528: 0ABB3B5D
	v_mul_f32_e32 v94, v94, v158                               // 00000000652C: 0ABD3D5E
	v_mul_f32_e32 v95, v95, v159                               // 000000006530: 0ABF3F5F
	v_pk_mul_f32 v[4:5], v[96:97], v[96:97]                    // 000000006534: D3B14004 1802C160
	v_pk_mul_f32 v[6:7], v[98:99], v[98:99]                    // 00000000653C: D3B14006 1802C562
	v_pk_fma_f32 v[4:5], v[4:5], s[78:79], v[8:9]              // 000000006544: D3B04004 1C209D04
	v_pk_fma_f32 v[6:7], v[6:7], s[78:79], v[8:9]              // 00000000654C: D3B04006 1C209D06
	v_pk_mul_f32 v[4:5], v[4:5], v[96:97]                      // 000000006554: D3B14004 1802C104
	v_pk_mul_f32 v[6:7], v[6:7], v[98:99]                      // 00000000655C: D3B14006 1802C506
	v_pk_mul_f32 v[4:5], v[4:5], s[60:61]                      // 000000006564: D3B14004 18007904
	v_pk_mul_f32 v[6:7], v[6:7], s[60:61]                      // 00000000656C: D3B14006 18007906
	v_exp_f32_e32 v4, v4                                       // 000000006574: 7E084104
	v_exp_f32_e32 v5, v5                                       // 000000006578: 7E0A4105
	v_exp_f32_e32 v6, v6                                       // 00000000657C: 7E0C4106
	v_exp_f32_e32 v7, v7                                       // 000000006580: 7E0E4107
	v_add_f32_e64 v4, v4, 1.0                                  // 000000006584: D1010004 0001E504
	v_add_f32_e64 v5, v5, 1.0                                  // 00000000658C: D1010005 0001E505
	v_add_f32_e64 v6, v6, 1.0                                  // 000000006594: D1010006 0001E506
	v_add_f32_e64 v7, v7, 1.0                                  // 00000000659C: D1010007 0001E507
	v_rcp_f32_e32 v4, v4                                       // 0000000065A4: 7E084504
	v_rcp_f32_e32 v5, v5                                       // 0000000065A8: 7E0A4505
	v_rcp_f32_e32 v6, v6                                       // 0000000065AC: 7E0C4506
	v_rcp_f32_e32 v7, v7                                       // 0000000065B0: 7E0E4507
	v_mul_f32_e32 v96, v96, v4                                 // 0000000065B4: 0AC00960
	v_mul_f32_e32 v97, v97, v5                                 // 0000000065B8: 0AC20B61
	v_mul_f32_e32 v98, v98, v6                                 // 0000000065BC: 0AC40D62
	v_mul_f32_e32 v99, v99, v7                                 // 0000000065C0: 0AC60F63
	v_mul_f32_e32 v96, v96, v160                               // 0000000065C4: 0AC14160
	v_mul_f32_e32 v97, v97, v161                               // 0000000065C8: 0AC34361
	v_mul_f32_e32 v98, v98, v162                               // 0000000065CC: 0AC54562
	v_mul_f32_e32 v99, v99, v163                               // 0000000065D0: 0AC74763
	v_pk_mul_f32 v[4:5], v[100:101], v[100:101]                // 0000000065D4: D3B14004 1802C964
	v_pk_mul_f32 v[6:7], v[102:103], v[102:103]                // 0000000065DC: D3B14006 1802CD66
	v_pk_fma_f32 v[4:5], v[4:5], s[78:79], v[8:9]              // 0000000065E4: D3B04004 1C209D04
	v_pk_fma_f32 v[6:7], v[6:7], s[78:79], v[8:9]              // 0000000065EC: D3B04006 1C209D06
	v_pk_mul_f32 v[4:5], v[4:5], v[100:101]                    // 0000000065F4: D3B14004 1802C904
	v_pk_mul_f32 v[6:7], v[6:7], v[102:103]                    // 0000000065FC: D3B14006 1802CD06
	v_pk_mul_f32 v[4:5], v[4:5], s[60:61]                      // 000000006604: D3B14004 18007904
	v_pk_mul_f32 v[6:7], v[6:7], s[60:61]                      // 00000000660C: D3B14006 18007906
	v_exp_f32_e32 v4, v4                                       // 000000006614: 7E084104
	v_exp_f32_e32 v5, v5                                       // 000000006618: 7E0A4105
	v_exp_f32_e32 v6, v6                                       // 00000000661C: 7E0C4106
	v_exp_f32_e32 v7, v7                                       // 000000006620: 7E0E4107
	v_add_f32_e64 v4, v4, 1.0                                  // 000000006624: D1010004 0001E504
	v_add_f32_e64 v5, v5, 1.0                                  // 00000000662C: D1010005 0001E505
	v_add_f32_e64 v6, v6, 1.0                                  // 000000006634: D1010006 0001E506
	v_add_f32_e64 v7, v7, 1.0                                  // 00000000663C: D1010007 0001E507
	v_rcp_f32_e32 v4, v4                                       // 000000006644: 7E084504
	v_rcp_f32_e32 v5, v5                                       // 000000006648: 7E0A4505
	v_rcp_f32_e32 v6, v6                                       // 00000000664C: 7E0C4506
	v_rcp_f32_e32 v7, v7                                       // 000000006650: 7E0E4507
	v_mul_f32_e32 v100, v100, v4                               // 000000006654: 0AC80964
	v_mul_f32_e32 v101, v101, v5                               // 000000006658: 0ACA0B65
	v_mul_f32_e32 v102, v102, v6                               // 00000000665C: 0ACC0D66
	v_mul_f32_e32 v103, v103, v7                               // 000000006660: 0ACE0F67
	v_mul_f32_e32 v100, v100, v164                             // 000000006664: 0AC94964
	v_mul_f32_e32 v101, v101, v165                             // 000000006668: 0ACB4B65
	v_mul_f32_e32 v102, v102, v166                             // 00000000666C: 0ACD4D66
	v_mul_f32_e32 v103, v103, v167                             // 000000006670: 0ACF4F67
	v_pk_mul_f32 v[4:5], v[104:105], v[104:105]                // 000000006674: D3B14004 1802D168
	v_pk_mul_f32 v[6:7], v[106:107], v[106:107]                // 00000000667C: D3B14006 1802D56A
	v_pk_fma_f32 v[4:5], v[4:5], s[78:79], v[8:9]              // 000000006684: D3B04004 1C209D04
	v_pk_fma_f32 v[6:7], v[6:7], s[78:79], v[8:9]              // 00000000668C: D3B04006 1C209D06
	v_pk_mul_f32 v[4:5], v[4:5], v[104:105]                    // 000000006694: D3B14004 1802D104
	v_pk_mul_f32 v[6:7], v[6:7], v[106:107]                    // 00000000669C: D3B14006 1802D506
	v_pk_mul_f32 v[4:5], v[4:5], s[60:61]                      // 0000000066A4: D3B14004 18007904
	v_pk_mul_f32 v[6:7], v[6:7], s[60:61]                      // 0000000066AC: D3B14006 18007906
	v_exp_f32_e32 v4, v4                                       // 0000000066B4: 7E084104
	v_exp_f32_e32 v5, v5                                       // 0000000066B8: 7E0A4105
	v_exp_f32_e32 v6, v6                                       // 0000000066BC: 7E0C4106
	v_exp_f32_e32 v7, v7                                       // 0000000066C0: 7E0E4107
	v_add_f32_e64 v4, v4, 1.0                                  // 0000000066C4: D1010004 0001E504
	v_add_f32_e64 v5, v5, 1.0                                  // 0000000066CC: D1010005 0001E505
	v_add_f32_e64 v6, v6, 1.0                                  // 0000000066D4: D1010006 0001E506
	v_add_f32_e64 v7, v7, 1.0                                  // 0000000066DC: D1010007 0001E507
	v_rcp_f32_e32 v4, v4                                       // 0000000066E4: 7E084504
	v_rcp_f32_e32 v5, v5                                       // 0000000066E8: 7E0A4505
	v_rcp_f32_e32 v6, v6                                       // 0000000066EC: 7E0C4506
	v_rcp_f32_e32 v7, v7                                       // 0000000066F0: 7E0E4507
	v_mul_f32_e32 v104, v104, v4                               // 0000000066F4: 0AD00968
	v_mul_f32_e32 v105, v105, v5                               // 0000000066F8: 0AD20B69
	v_mul_f32_e32 v106, v106, v6                               // 0000000066FC: 0AD40D6A
	v_mul_f32_e32 v107, v107, v7                               // 000000006700: 0AD60F6B
	v_mul_f32_e32 v104, v104, v168                             // 000000006704: 0AD15168
	v_mul_f32_e32 v105, v105, v169                             // 000000006708: 0AD35369
	v_mul_f32_e32 v106, v106, v170                             // 00000000670C: 0AD5556A
	v_mul_f32_e32 v107, v107, v171                             // 000000006710: 0AD7576B
	v_pk_mul_f32 v[4:5], v[108:109], v[108:109]                // 000000006714: D3B14004 1802D96C
	v_pk_mul_f32 v[6:7], v[110:111], v[110:111]                // 00000000671C: D3B14006 1802DD6E
	v_pk_fma_f32 v[4:5], v[4:5], s[78:79], v[8:9]              // 000000006724: D3B04004 1C209D04
	v_pk_fma_f32 v[6:7], v[6:7], s[78:79], v[8:9]              // 00000000672C: D3B04006 1C209D06
	v_pk_mul_f32 v[4:5], v[4:5], v[108:109]                    // 000000006734: D3B14004 1802D904
	v_pk_mul_f32 v[6:7], v[6:7], v[110:111]                    // 00000000673C: D3B14006 1802DD06
	v_pk_mul_f32 v[4:5], v[4:5], s[60:61]                      // 000000006744: D3B14004 18007904
	v_pk_mul_f32 v[6:7], v[6:7], s[60:61]                      // 00000000674C: D3B14006 18007906
	v_exp_f32_e32 v4, v4                                       // 000000006754: 7E084104
	v_exp_f32_e32 v5, v5                                       // 000000006758: 7E0A4105
	v_exp_f32_e32 v6, v6                                       // 00000000675C: 7E0C4106
	v_exp_f32_e32 v7, v7                                       // 000000006760: 7E0E4107
	v_add_f32_e64 v4, v4, 1.0                                  // 000000006764: D1010004 0001E504
	v_add_f32_e64 v5, v5, 1.0                                  // 00000000676C: D1010005 0001E505
	v_add_f32_e64 v6, v6, 1.0                                  // 000000006774: D1010006 0001E506
	v_add_f32_e64 v7, v7, 1.0                                  // 00000000677C: D1010007 0001E507
	v_rcp_f32_e32 v4, v4                                       // 000000006784: 7E084504
	v_rcp_f32_e32 v5, v5                                       // 000000006788: 7E0A4505
	v_rcp_f32_e32 v6, v6                                       // 00000000678C: 7E0C4506
	v_rcp_f32_e32 v7, v7                                       // 000000006790: 7E0E4507
	v_mul_f32_e32 v108, v108, v4                               // 000000006794: 0AD8096C
	v_mul_f32_e32 v109, v109, v5                               // 000000006798: 0ADA0B6D
	v_mul_f32_e32 v110, v110, v6                               // 00000000679C: 0ADC0D6E
	v_mul_f32_e32 v111, v111, v7                               // 0000000067A0: 0ADE0F6F
	v_mul_f32_e32 v108, v108, v172                             // 0000000067A4: 0AD9596C
	v_mul_f32_e32 v109, v109, v173                             // 0000000067A8: 0ADB5B6D
	v_mul_f32_e32 v110, v110, v174                             // 0000000067AC: 0ADD5D6E
	v_mul_f32_e32 v111, v111, v175                             // 0000000067B0: 0ADF5F6F
	v_pk_mul_f32 v[4:5], v[112:113], v[112:113]                // 0000000067B4: D3B14004 1802E170
	v_pk_mul_f32 v[6:7], v[114:115], v[114:115]                // 0000000067BC: D3B14006 1802E572
	v_pk_fma_f32 v[4:5], v[4:5], s[78:79], v[8:9]              // 0000000067C4: D3B04004 1C209D04
	v_pk_fma_f32 v[6:7], v[6:7], s[78:79], v[8:9]              // 0000000067CC: D3B04006 1C209D06
	v_pk_mul_f32 v[4:5], v[4:5], v[112:113]                    // 0000000067D4: D3B14004 1802E104
	v_pk_mul_f32 v[6:7], v[6:7], v[114:115]                    // 0000000067DC: D3B14006 1802E506
	v_pk_mul_f32 v[4:5], v[4:5], s[60:61]                      // 0000000067E4: D3B14004 18007904
	v_pk_mul_f32 v[6:7], v[6:7], s[60:61]                      // 0000000067EC: D3B14006 18007906
	v_exp_f32_e32 v4, v4                                       // 0000000067F4: 7E084104
	v_exp_f32_e32 v5, v5                                       // 0000000067F8: 7E0A4105
	v_exp_f32_e32 v6, v6                                       // 0000000067FC: 7E0C4106
	v_exp_f32_e32 v7, v7                                       // 000000006800: 7E0E4107
	v_add_f32_e64 v4, v4, 1.0                                  // 000000006804: D1010004 0001E504
	v_add_f32_e64 v5, v5, 1.0                                  // 00000000680C: D1010005 0001E505
	v_add_f32_e64 v6, v6, 1.0                                  // 000000006814: D1010006 0001E506
	v_add_f32_e64 v7, v7, 1.0                                  // 00000000681C: D1010007 0001E507
	v_rcp_f32_e32 v4, v4                                       // 000000006824: 7E084504
	v_rcp_f32_e32 v5, v5                                       // 000000006828: 7E0A4505
	v_rcp_f32_e32 v6, v6                                       // 00000000682C: 7E0C4506
	v_rcp_f32_e32 v7, v7                                       // 000000006830: 7E0E4507
	v_mul_f32_e32 v112, v112, v4                               // 000000006834: 0AE00970
	v_mul_f32_e32 v113, v113, v5                               // 000000006838: 0AE20B71
	v_mul_f32_e32 v114, v114, v6                               // 00000000683C: 0AE40D72
	v_mul_f32_e32 v115, v115, v7                               // 000000006840: 0AE60F73
	v_mul_f32_e32 v112, v112, v176                             // 000000006844: 0AE16170
	v_mul_f32_e32 v113, v113, v177                             // 000000006848: 0AE36371
	v_mul_f32_e32 v114, v114, v178                             // 00000000684C: 0AE56572
	v_mul_f32_e32 v115, v115, v179                             // 000000006850: 0AE76773
	s_branch label_1196                                        // 000000006854: BF820200

0000000000006858 <label_0F96>:
	v_mul_f32_e64 v4, -v52, s6                                 // 000000006858: D1050004 20000D34
	v_mul_f32_e64 v5, -v53, s6                                 // 000000006860: D1050005 20000D35
	v_mul_f32_e64 v6, -v54, s6                                 // 000000006868: D1050006 20000D36
	v_mul_f32_e64 v7, -v55, s6                                 // 000000006870: D1050007 20000D37
	v_exp_f32_e32 v4, v4                                       // 000000006878: 7E084104
	v_exp_f32_e32 v5, v5                                       // 00000000687C: 7E0A4105
	v_exp_f32_e32 v6, v6                                       // 000000006880: 7E0C4106
	v_exp_f32_e32 v7, v7                                       // 000000006884: 7E0E4107
	v_add_f32_e64 v4, v4, 1.0                                  // 000000006888: D1010004 0001E504
	v_add_f32_e64 v5, v5, 1.0                                  // 000000006890: D1010005 0001E505
	v_add_f32_e64 v6, v6, 1.0                                  // 000000006898: D1010006 0001E506
	v_add_f32_e64 v7, v7, 1.0                                  // 0000000068A0: D1010007 0001E507
	v_rcp_f32_e32 v4, v4                                       // 0000000068A8: 7E084504
	v_rcp_f32_e32 v5, v5                                       // 0000000068AC: 7E0A4505
	v_rcp_f32_e32 v6, v6                                       // 0000000068B0: 7E0C4506
	v_rcp_f32_e32 v7, v7                                       // 0000000068B4: 7E0E4507
	v_mul_f32_e32 v52, v52, v4                                 // 0000000068B8: 0A680934
	v_mul_f32_e32 v53, v53, v5                                 // 0000000068BC: 0A6A0B35
	v_mul_f32_e32 v54, v54, v6                                 // 0000000068C0: 0A6C0D36
	v_mul_f32_e32 v55, v55, v7                                 // 0000000068C4: 0A6E0F37
	v_mul_f32_e32 v52, v52, v116                               // 0000000068C8: 0A68E934
	v_mul_f32_e32 v53, v53, v117                               // 0000000068CC: 0A6AEB35
	v_mul_f32_e32 v54, v54, v118                               // 0000000068D0: 0A6CED36
	v_mul_f32_e32 v55, v55, v119                               // 0000000068D4: 0A6EEF37
	v_mul_f32_e64 v4, -v56, s6                                 // 0000000068D8: D1050004 20000D38
	v_mul_f32_e64 v5, -v57, s6                                 // 0000000068E0: D1050005 20000D39
	v_mul_f32_e64 v6, -v58, s6                                 // 0000000068E8: D1050006 20000D3A
	v_mul_f32_e64 v7, -v59, s6                                 // 0000000068F0: D1050007 20000D3B
	v_exp_f32_e32 v4, v4                                       // 0000000068F8: 7E084104
	v_exp_f32_e32 v5, v5                                       // 0000000068FC: 7E0A4105
	v_exp_f32_e32 v6, v6                                       // 000000006900: 7E0C4106
	v_exp_f32_e32 v7, v7                                       // 000000006904: 7E0E4107
	v_add_f32_e64 v4, v4, 1.0                                  // 000000006908: D1010004 0001E504
	v_add_f32_e64 v5, v5, 1.0                                  // 000000006910: D1010005 0001E505
	v_add_f32_e64 v6, v6, 1.0                                  // 000000006918: D1010006 0001E506
	v_add_f32_e64 v7, v7, 1.0                                  // 000000006920: D1010007 0001E507
	v_rcp_f32_e32 v4, v4                                       // 000000006928: 7E084504
	v_rcp_f32_e32 v5, v5                                       // 00000000692C: 7E0A4505
	v_rcp_f32_e32 v6, v6                                       // 000000006930: 7E0C4506
	v_rcp_f32_e32 v7, v7                                       // 000000006934: 7E0E4507
	v_mul_f32_e32 v56, v56, v4                                 // 000000006938: 0A700938
	v_mul_f32_e32 v57, v57, v5                                 // 00000000693C: 0A720B39
	v_mul_f32_e32 v58, v58, v6                                 // 000000006940: 0A740D3A
	v_mul_f32_e32 v59, v59, v7                                 // 000000006944: 0A760F3B
	v_mul_f32_e32 v56, v56, v120                               // 000000006948: 0A70F138
	v_mul_f32_e32 v57, v57, v121                               // 00000000694C: 0A72F339
	v_mul_f32_e32 v58, v58, v122                               // 000000006950: 0A74F53A
	v_mul_f32_e32 v59, v59, v123                               // 000000006954: 0A76F73B
	v_mul_f32_e64 v4, -v60, s6                                 // 000000006958: D1050004 20000D3C
	v_mul_f32_e64 v5, -v61, s6                                 // 000000006960: D1050005 20000D3D
	v_mul_f32_e64 v6, -v62, s6                                 // 000000006968: D1050006 20000D3E
	v_mul_f32_e64 v7, -v63, s6                                 // 000000006970: D1050007 20000D3F
	v_exp_f32_e32 v4, v4                                       // 000000006978: 7E084104
	v_exp_f32_e32 v5, v5                                       // 00000000697C: 7E0A4105
	v_exp_f32_e32 v6, v6                                       // 000000006980: 7E0C4106
	v_exp_f32_e32 v7, v7                                       // 000000006984: 7E0E4107
	v_add_f32_e64 v4, v4, 1.0                                  // 000000006988: D1010004 0001E504
	v_add_f32_e64 v5, v5, 1.0                                  // 000000006990: D1010005 0001E505
	v_add_f32_e64 v6, v6, 1.0                                  // 000000006998: D1010006 0001E506
	v_add_f32_e64 v7, v7, 1.0                                  // 0000000069A0: D1010007 0001E507
	v_rcp_f32_e32 v4, v4                                       // 0000000069A8: 7E084504
	v_rcp_f32_e32 v5, v5                                       // 0000000069AC: 7E0A4505
	v_rcp_f32_e32 v6, v6                                       // 0000000069B0: 7E0C4506
	v_rcp_f32_e32 v7, v7                                       // 0000000069B4: 7E0E4507
	v_mul_f32_e32 v60, v60, v4                                 // 0000000069B8: 0A78093C
	v_mul_f32_e32 v61, v61, v5                                 // 0000000069BC: 0A7A0B3D
	v_mul_f32_e32 v62, v62, v6                                 // 0000000069C0: 0A7C0D3E
	v_mul_f32_e32 v63, v63, v7                                 // 0000000069C4: 0A7E0F3F
	v_mul_f32_e32 v60, v60, v124                               // 0000000069C8: 0A78F93C
	v_mul_f32_e32 v61, v61, v125                               // 0000000069CC: 0A7AFB3D
	v_mul_f32_e32 v62, v62, v126                               // 0000000069D0: 0A7CFD3E
	v_mul_f32_e32 v63, v63, v127                               // 0000000069D4: 0A7EFF3F
	v_mul_f32_e64 v4, -v64, s6                                 // 0000000069D8: D1050004 20000D40
	v_mul_f32_e64 v5, -v65, s6                                 // 0000000069E0: D1050005 20000D41
	v_mul_f32_e64 v6, -v66, s6                                 // 0000000069E8: D1050006 20000D42
	v_mul_f32_e64 v7, -v67, s6                                 // 0000000069F0: D1050007 20000D43
	v_exp_f32_e32 v4, v4                                       // 0000000069F8: 7E084104
	v_exp_f32_e32 v5, v5                                       // 0000000069FC: 7E0A4105
	v_exp_f32_e32 v6, v6                                       // 000000006A00: 7E0C4106
	v_exp_f32_e32 v7, v7                                       // 000000006A04: 7E0E4107
	v_add_f32_e64 v4, v4, 1.0                                  // 000000006A08: D1010004 0001E504
	v_add_f32_e64 v5, v5, 1.0                                  // 000000006A10: D1010005 0001E505
	v_add_f32_e64 v6, v6, 1.0                                  // 000000006A18: D1010006 0001E506
	v_add_f32_e64 v7, v7, 1.0                                  // 000000006A20: D1010007 0001E507
	v_rcp_f32_e32 v4, v4                                       // 000000006A28: 7E084504
	v_rcp_f32_e32 v5, v5                                       // 000000006A2C: 7E0A4505
	v_rcp_f32_e32 v6, v6                                       // 000000006A30: 7E0C4506
	v_rcp_f32_e32 v7, v7                                       // 000000006A34: 7E0E4507
	v_mul_f32_e32 v64, v64, v4                                 // 000000006A38: 0A800940
	v_mul_f32_e32 v65, v65, v5                                 // 000000006A3C: 0A820B41
	v_mul_f32_e32 v66, v66, v6                                 // 000000006A40: 0A840D42
	v_mul_f32_e32 v67, v67, v7                                 // 000000006A44: 0A860F43
	v_mul_f32_e32 v64, v64, v128                               // 000000006A48: 0A810140
	v_mul_f32_e32 v65, v65, v129                               // 000000006A4C: 0A830341
	v_mul_f32_e32 v66, v66, v130                               // 000000006A50: 0A850542
	v_mul_f32_e32 v67, v67, v131                               // 000000006A54: 0A870743
	v_mul_f32_e64 v4, -v68, s6                                 // 000000006A58: D1050004 20000D44
	v_mul_f32_e64 v5, -v69, s6                                 // 000000006A60: D1050005 20000D45
	v_mul_f32_e64 v6, -v70, s6                                 // 000000006A68: D1050006 20000D46
	v_mul_f32_e64 v7, -v71, s6                                 // 000000006A70: D1050007 20000D47
	v_exp_f32_e32 v4, v4                                       // 000000006A78: 7E084104
	v_exp_f32_e32 v5, v5                                       // 000000006A7C: 7E0A4105
	v_exp_f32_e32 v6, v6                                       // 000000006A80: 7E0C4106
	v_exp_f32_e32 v7, v7                                       // 000000006A84: 7E0E4107
	v_add_f32_e64 v4, v4, 1.0                                  // 000000006A88: D1010004 0001E504
	v_add_f32_e64 v5, v5, 1.0                                  // 000000006A90: D1010005 0001E505
	v_add_f32_e64 v6, v6, 1.0                                  // 000000006A98: D1010006 0001E506
	v_add_f32_e64 v7, v7, 1.0                                  // 000000006AA0: D1010007 0001E507
	v_rcp_f32_e32 v4, v4                                       // 000000006AA8: 7E084504
	v_rcp_f32_e32 v5, v5                                       // 000000006AAC: 7E0A4505
	v_rcp_f32_e32 v6, v6                                       // 000000006AB0: 7E0C4506
	v_rcp_f32_e32 v7, v7                                       // 000000006AB4: 7E0E4507
	v_mul_f32_e32 v68, v68, v4                                 // 000000006AB8: 0A880944
	v_mul_f32_e32 v69, v69, v5                                 // 000000006ABC: 0A8A0B45
	v_mul_f32_e32 v70, v70, v6                                 // 000000006AC0: 0A8C0D46
	v_mul_f32_e32 v71, v71, v7                                 // 000000006AC4: 0A8E0F47
	v_mul_f32_e32 v68, v68, v132                               // 000000006AC8: 0A890944
	v_mul_f32_e32 v69, v69, v133                               // 000000006ACC: 0A8B0B45
	v_mul_f32_e32 v70, v70, v134                               // 000000006AD0: 0A8D0D46
	v_mul_f32_e32 v71, v71, v135                               // 000000006AD4: 0A8F0F47
	v_mul_f32_e64 v4, -v72, s6                                 // 000000006AD8: D1050004 20000D48
	v_mul_f32_e64 v5, -v73, s6                                 // 000000006AE0: D1050005 20000D49
	v_mul_f32_e64 v6, -v74, s6                                 // 000000006AE8: D1050006 20000D4A
	v_mul_f32_e64 v7, -v75, s6                                 // 000000006AF0: D1050007 20000D4B
	v_exp_f32_e32 v4, v4                                       // 000000006AF8: 7E084104
	v_exp_f32_e32 v5, v5                                       // 000000006AFC: 7E0A4105
	v_exp_f32_e32 v6, v6                                       // 000000006B00: 7E0C4106
	v_exp_f32_e32 v7, v7                                       // 000000006B04: 7E0E4107
	v_add_f32_e64 v4, v4, 1.0                                  // 000000006B08: D1010004 0001E504
	v_add_f32_e64 v5, v5, 1.0                                  // 000000006B10: D1010005 0001E505
	v_add_f32_e64 v6, v6, 1.0                                  // 000000006B18: D1010006 0001E506
	v_add_f32_e64 v7, v7, 1.0                                  // 000000006B20: D1010007 0001E507
	v_rcp_f32_e32 v4, v4                                       // 000000006B28: 7E084504
	v_rcp_f32_e32 v5, v5                                       // 000000006B2C: 7E0A4505
	v_rcp_f32_e32 v6, v6                                       // 000000006B30: 7E0C4506
	v_rcp_f32_e32 v7, v7                                       // 000000006B34: 7E0E4507
	v_mul_f32_e32 v72, v72, v4                                 // 000000006B38: 0A900948
	v_mul_f32_e32 v73, v73, v5                                 // 000000006B3C: 0A920B49
	v_mul_f32_e32 v74, v74, v6                                 // 000000006B40: 0A940D4A
	v_mul_f32_e32 v75, v75, v7                                 // 000000006B44: 0A960F4B
	v_mul_f32_e32 v72, v72, v136                               // 000000006B48: 0A911148
	v_mul_f32_e32 v73, v73, v137                               // 000000006B4C: 0A931349
	v_mul_f32_e32 v74, v74, v138                               // 000000006B50: 0A95154A
	v_mul_f32_e32 v75, v75, v139                               // 000000006B54: 0A97174B
	v_mul_f32_e64 v4, -v76, s6                                 // 000000006B58: D1050004 20000D4C
	v_mul_f32_e64 v5, -v77, s6                                 // 000000006B60: D1050005 20000D4D
	v_mul_f32_e64 v6, -v78, s6                                 // 000000006B68: D1050006 20000D4E
	v_mul_f32_e64 v7, -v79, s6                                 // 000000006B70: D1050007 20000D4F
	v_exp_f32_e32 v4, v4                                       // 000000006B78: 7E084104
	v_exp_f32_e32 v5, v5                                       // 000000006B7C: 7E0A4105
	v_exp_f32_e32 v6, v6                                       // 000000006B80: 7E0C4106
	v_exp_f32_e32 v7, v7                                       // 000000006B84: 7E0E4107
	v_add_f32_e64 v4, v4, 1.0                                  // 000000006B88: D1010004 0001E504
	v_add_f32_e64 v5, v5, 1.0                                  // 000000006B90: D1010005 0001E505
	v_add_f32_e64 v6, v6, 1.0                                  // 000000006B98: D1010006 0001E506
	v_add_f32_e64 v7, v7, 1.0                                  // 000000006BA0: D1010007 0001E507
	v_rcp_f32_e32 v4, v4                                       // 000000006BA8: 7E084504
	v_rcp_f32_e32 v5, v5                                       // 000000006BAC: 7E0A4505
	v_rcp_f32_e32 v6, v6                                       // 000000006BB0: 7E0C4506
	v_rcp_f32_e32 v7, v7                                       // 000000006BB4: 7E0E4507
	v_mul_f32_e32 v76, v76, v4                                 // 000000006BB8: 0A98094C
	v_mul_f32_e32 v77, v77, v5                                 // 000000006BBC: 0A9A0B4D
	v_mul_f32_e32 v78, v78, v6                                 // 000000006BC0: 0A9C0D4E
	v_mul_f32_e32 v79, v79, v7                                 // 000000006BC4: 0A9E0F4F
	v_mul_f32_e32 v76, v76, v140                               // 000000006BC8: 0A99194C
	v_mul_f32_e32 v77, v77, v141                               // 000000006BCC: 0A9B1B4D
	v_mul_f32_e32 v78, v78, v142                               // 000000006BD0: 0A9D1D4E
	v_mul_f32_e32 v79, v79, v143                               // 000000006BD4: 0A9F1F4F
	v_mul_f32_e64 v4, -v80, s6                                 // 000000006BD8: D1050004 20000D50
	v_mul_f32_e64 v5, -v81, s6                                 // 000000006BE0: D1050005 20000D51
	v_mul_f32_e64 v6, -v82, s6                                 // 000000006BE8: D1050006 20000D52
	v_mul_f32_e64 v7, -v83, s6                                 // 000000006BF0: D1050007 20000D53
	v_exp_f32_e32 v4, v4                                       // 000000006BF8: 7E084104
	v_exp_f32_e32 v5, v5                                       // 000000006BFC: 7E0A4105
	v_exp_f32_e32 v6, v6                                       // 000000006C00: 7E0C4106
	v_exp_f32_e32 v7, v7                                       // 000000006C04: 7E0E4107
	v_add_f32_e64 v4, v4, 1.0                                  // 000000006C08: D1010004 0001E504
	v_add_f32_e64 v5, v5, 1.0                                  // 000000006C10: D1010005 0001E505
	v_add_f32_e64 v6, v6, 1.0                                  // 000000006C18: D1010006 0001E506
	v_add_f32_e64 v7, v7, 1.0                                  // 000000006C20: D1010007 0001E507
	v_rcp_f32_e32 v4, v4                                       // 000000006C28: 7E084504
	v_rcp_f32_e32 v5, v5                                       // 000000006C2C: 7E0A4505
	v_rcp_f32_e32 v6, v6                                       // 000000006C30: 7E0C4506
	v_rcp_f32_e32 v7, v7                                       // 000000006C34: 7E0E4507
	v_mul_f32_e32 v80, v80, v4                                 // 000000006C38: 0AA00950
	v_mul_f32_e32 v81, v81, v5                                 // 000000006C3C: 0AA20B51
	v_mul_f32_e32 v82, v82, v6                                 // 000000006C40: 0AA40D52
	v_mul_f32_e32 v83, v83, v7                                 // 000000006C44: 0AA60F53
	v_mul_f32_e32 v80, v80, v144                               // 000000006C48: 0AA12150
	v_mul_f32_e32 v81, v81, v145                               // 000000006C4C: 0AA32351
	v_mul_f32_e32 v82, v82, v146                               // 000000006C50: 0AA52552
	v_mul_f32_e32 v83, v83, v147                               // 000000006C54: 0AA72753
	v_mul_f32_e64 v4, -v84, s6                                 // 000000006C58: D1050004 20000D54
	v_mul_f32_e64 v5, -v85, s6                                 // 000000006C60: D1050005 20000D55
	v_mul_f32_e64 v6, -v86, s6                                 // 000000006C68: D1050006 20000D56
	v_mul_f32_e64 v7, -v87, s6                                 // 000000006C70: D1050007 20000D57
	v_exp_f32_e32 v4, v4                                       // 000000006C78: 7E084104
	v_exp_f32_e32 v5, v5                                       // 000000006C7C: 7E0A4105
	v_exp_f32_e32 v6, v6                                       // 000000006C80: 7E0C4106
	v_exp_f32_e32 v7, v7                                       // 000000006C84: 7E0E4107
	v_add_f32_e64 v4, v4, 1.0                                  // 000000006C88: D1010004 0001E504
	v_add_f32_e64 v5, v5, 1.0                                  // 000000006C90: D1010005 0001E505
	v_add_f32_e64 v6, v6, 1.0                                  // 000000006C98: D1010006 0001E506
	v_add_f32_e64 v7, v7, 1.0                                  // 000000006CA0: D1010007 0001E507
	v_rcp_f32_e32 v4, v4                                       // 000000006CA8: 7E084504
	v_rcp_f32_e32 v5, v5                                       // 000000006CAC: 7E0A4505
	v_rcp_f32_e32 v6, v6                                       // 000000006CB0: 7E0C4506
	v_rcp_f32_e32 v7, v7                                       // 000000006CB4: 7E0E4507
	v_mul_f32_e32 v84, v84, v4                                 // 000000006CB8: 0AA80954
	v_mul_f32_e32 v85, v85, v5                                 // 000000006CBC: 0AAA0B55
	v_mul_f32_e32 v86, v86, v6                                 // 000000006CC0: 0AAC0D56
	v_mul_f32_e32 v87, v87, v7                                 // 000000006CC4: 0AAE0F57
	v_mul_f32_e32 v84, v84, v148                               // 000000006CC8: 0AA92954
	v_mul_f32_e32 v85, v85, v149                               // 000000006CCC: 0AAB2B55
	v_mul_f32_e32 v86, v86, v150                               // 000000006CD0: 0AAD2D56
	v_mul_f32_e32 v87, v87, v151                               // 000000006CD4: 0AAF2F57
	v_mul_f32_e64 v4, -v88, s6                                 // 000000006CD8: D1050004 20000D58
	v_mul_f32_e64 v5, -v89, s6                                 // 000000006CE0: D1050005 20000D59
	v_mul_f32_e64 v6, -v90, s6                                 // 000000006CE8: D1050006 20000D5A
	v_mul_f32_e64 v7, -v91, s6                                 // 000000006CF0: D1050007 20000D5B
	v_exp_f32_e32 v4, v4                                       // 000000006CF8: 7E084104
	v_exp_f32_e32 v5, v5                                       // 000000006CFC: 7E0A4105
	v_exp_f32_e32 v6, v6                                       // 000000006D00: 7E0C4106
	v_exp_f32_e32 v7, v7                                       // 000000006D04: 7E0E4107
	v_add_f32_e64 v4, v4, 1.0                                  // 000000006D08: D1010004 0001E504
	v_add_f32_e64 v5, v5, 1.0                                  // 000000006D10: D1010005 0001E505
	v_add_f32_e64 v6, v6, 1.0                                  // 000000006D18: D1010006 0001E506
	v_add_f32_e64 v7, v7, 1.0                                  // 000000006D20: D1010007 0001E507
	v_rcp_f32_e32 v4, v4                                       // 000000006D28: 7E084504
	v_rcp_f32_e32 v5, v5                                       // 000000006D2C: 7E0A4505
	v_rcp_f32_e32 v6, v6                                       // 000000006D30: 7E0C4506
	v_rcp_f32_e32 v7, v7                                       // 000000006D34: 7E0E4507
	v_mul_f32_e32 v88, v88, v4                                 // 000000006D38: 0AB00958
	v_mul_f32_e32 v89, v89, v5                                 // 000000006D3C: 0AB20B59
	v_mul_f32_e32 v90, v90, v6                                 // 000000006D40: 0AB40D5A
	v_mul_f32_e32 v91, v91, v7                                 // 000000006D44: 0AB60F5B
	v_mul_f32_e32 v88, v88, v152                               // 000000006D48: 0AB13158
	v_mul_f32_e32 v89, v89, v153                               // 000000006D4C: 0AB33359
	v_mul_f32_e32 v90, v90, v154                               // 000000006D50: 0AB5355A
	v_mul_f32_e32 v91, v91, v155                               // 000000006D54: 0AB7375B
	v_mul_f32_e64 v4, -v92, s6                                 // 000000006D58: D1050004 20000D5C
	v_mul_f32_e64 v5, -v93, s6                                 // 000000006D60: D1050005 20000D5D
	v_mul_f32_e64 v6, -v94, s6                                 // 000000006D68: D1050006 20000D5E
	v_mul_f32_e64 v7, -v95, s6                                 // 000000006D70: D1050007 20000D5F
	v_exp_f32_e32 v4, v4                                       // 000000006D78: 7E084104
	v_exp_f32_e32 v5, v5                                       // 000000006D7C: 7E0A4105
	v_exp_f32_e32 v6, v6                                       // 000000006D80: 7E0C4106
	v_exp_f32_e32 v7, v7                                       // 000000006D84: 7E0E4107
	v_add_f32_e64 v4, v4, 1.0                                  // 000000006D88: D1010004 0001E504
	v_add_f32_e64 v5, v5, 1.0                                  // 000000006D90: D1010005 0001E505
	v_add_f32_e64 v6, v6, 1.0                                  // 000000006D98: D1010006 0001E506
	v_add_f32_e64 v7, v7, 1.0                                  // 000000006DA0: D1010007 0001E507
	v_rcp_f32_e32 v4, v4                                       // 000000006DA8: 7E084504
	v_rcp_f32_e32 v5, v5                                       // 000000006DAC: 7E0A4505
	v_rcp_f32_e32 v6, v6                                       // 000000006DB0: 7E0C4506
	v_rcp_f32_e32 v7, v7                                       // 000000006DB4: 7E0E4507
	v_mul_f32_e32 v92, v92, v4                                 // 000000006DB8: 0AB8095C
	v_mul_f32_e32 v93, v93, v5                                 // 000000006DBC: 0ABA0B5D
	v_mul_f32_e32 v94, v94, v6                                 // 000000006DC0: 0ABC0D5E
	v_mul_f32_e32 v95, v95, v7                                 // 000000006DC4: 0ABE0F5F
	v_mul_f32_e32 v92, v92, v156                               // 000000006DC8: 0AB9395C
	v_mul_f32_e32 v93, v93, v157                               // 000000006DCC: 0ABB3B5D
	v_mul_f32_e32 v94, v94, v158                               // 000000006DD0: 0ABD3D5E
	v_mul_f32_e32 v95, v95, v159                               // 000000006DD4: 0ABF3F5F
	v_mul_f32_e64 v4, -v96, s6                                 // 000000006DD8: D1050004 20000D60
	v_mul_f32_e64 v5, -v97, s6                                 // 000000006DE0: D1050005 20000D61
	v_mul_f32_e64 v6, -v98, s6                                 // 000000006DE8: D1050006 20000D62
	v_mul_f32_e64 v7, -v99, s6                                 // 000000006DF0: D1050007 20000D63
	v_exp_f32_e32 v4, v4                                       // 000000006DF8: 7E084104
	v_exp_f32_e32 v5, v5                                       // 000000006DFC: 7E0A4105
	v_exp_f32_e32 v6, v6                                       // 000000006E00: 7E0C4106
	v_exp_f32_e32 v7, v7                                       // 000000006E04: 7E0E4107
	v_add_f32_e64 v4, v4, 1.0                                  // 000000006E08: D1010004 0001E504
	v_add_f32_e64 v5, v5, 1.0                                  // 000000006E10: D1010005 0001E505
	v_add_f32_e64 v6, v6, 1.0                                  // 000000006E18: D1010006 0001E506
	v_add_f32_e64 v7, v7, 1.0                                  // 000000006E20: D1010007 0001E507
	v_rcp_f32_e32 v4, v4                                       // 000000006E28: 7E084504
	v_rcp_f32_e32 v5, v5                                       // 000000006E2C: 7E0A4505
	v_rcp_f32_e32 v6, v6                                       // 000000006E30: 7E0C4506
	v_rcp_f32_e32 v7, v7                                       // 000000006E34: 7E0E4507
	v_mul_f32_e32 v96, v96, v4                                 // 000000006E38: 0AC00960
	v_mul_f32_e32 v97, v97, v5                                 // 000000006E3C: 0AC20B61
	v_mul_f32_e32 v98, v98, v6                                 // 000000006E40: 0AC40D62
	v_mul_f32_e32 v99, v99, v7                                 // 000000006E44: 0AC60F63
	v_mul_f32_e32 v96, v96, v160                               // 000000006E48: 0AC14160
	v_mul_f32_e32 v97, v97, v161                               // 000000006E4C: 0AC34361
	v_mul_f32_e32 v98, v98, v162                               // 000000006E50: 0AC54562
	v_mul_f32_e32 v99, v99, v163                               // 000000006E54: 0AC74763
	v_mul_f32_e64 v4, -v100, s6                                // 000000006E58: D1050004 20000D64
	v_mul_f32_e64 v5, -v101, s6                                // 000000006E60: D1050005 20000D65
	v_mul_f32_e64 v6, -v102, s6                                // 000000006E68: D1050006 20000D66
	v_mul_f32_e64 v7, -v103, s6                                // 000000006E70: D1050007 20000D67
	v_exp_f32_e32 v4, v4                                       // 000000006E78: 7E084104
	v_exp_f32_e32 v5, v5                                       // 000000006E7C: 7E0A4105
	v_exp_f32_e32 v6, v6                                       // 000000006E80: 7E0C4106
	v_exp_f32_e32 v7, v7                                       // 000000006E84: 7E0E4107
	v_add_f32_e64 v4, v4, 1.0                                  // 000000006E88: D1010004 0001E504
	v_add_f32_e64 v5, v5, 1.0                                  // 000000006E90: D1010005 0001E505
	v_add_f32_e64 v6, v6, 1.0                                  // 000000006E98: D1010006 0001E506
	v_add_f32_e64 v7, v7, 1.0                                  // 000000006EA0: D1010007 0001E507
	v_rcp_f32_e32 v4, v4                                       // 000000006EA8: 7E084504
	v_rcp_f32_e32 v5, v5                                       // 000000006EAC: 7E0A4505
	v_rcp_f32_e32 v6, v6                                       // 000000006EB0: 7E0C4506
	v_rcp_f32_e32 v7, v7                                       // 000000006EB4: 7E0E4507
	v_mul_f32_e32 v100, v100, v4                               // 000000006EB8: 0AC80964
	v_mul_f32_e32 v101, v101, v5                               // 000000006EBC: 0ACA0B65
	v_mul_f32_e32 v102, v102, v6                               // 000000006EC0: 0ACC0D66
	v_mul_f32_e32 v103, v103, v7                               // 000000006EC4: 0ACE0F67
	v_mul_f32_e32 v100, v100, v164                             // 000000006EC8: 0AC94964
	v_mul_f32_e32 v101, v101, v165                             // 000000006ECC: 0ACB4B65
	v_mul_f32_e32 v102, v102, v166                             // 000000006ED0: 0ACD4D66
	v_mul_f32_e32 v103, v103, v167                             // 000000006ED4: 0ACF4F67
	v_mul_f32_e64 v4, -v104, s6                                // 000000006ED8: D1050004 20000D68
	v_mul_f32_e64 v5, -v105, s6                                // 000000006EE0: D1050005 20000D69
	v_mul_f32_e64 v6, -v106, s6                                // 000000006EE8: D1050006 20000D6A
	v_mul_f32_e64 v7, -v107, s6                                // 000000006EF0: D1050007 20000D6B
	v_exp_f32_e32 v4, v4                                       // 000000006EF8: 7E084104
	v_exp_f32_e32 v5, v5                                       // 000000006EFC: 7E0A4105
	v_exp_f32_e32 v6, v6                                       // 000000006F00: 7E0C4106
	v_exp_f32_e32 v7, v7                                       // 000000006F04: 7E0E4107
	v_add_f32_e64 v4, v4, 1.0                                  // 000000006F08: D1010004 0001E504
	v_add_f32_e64 v5, v5, 1.0                                  // 000000006F10: D1010005 0001E505
	v_add_f32_e64 v6, v6, 1.0                                  // 000000006F18: D1010006 0001E506
	v_add_f32_e64 v7, v7, 1.0                                  // 000000006F20: D1010007 0001E507
	v_rcp_f32_e32 v4, v4                                       // 000000006F28: 7E084504
	v_rcp_f32_e32 v5, v5                                       // 000000006F2C: 7E0A4505
	v_rcp_f32_e32 v6, v6                                       // 000000006F30: 7E0C4506
	v_rcp_f32_e32 v7, v7                                       // 000000006F34: 7E0E4507
	v_mul_f32_e32 v104, v104, v4                               // 000000006F38: 0AD00968
	v_mul_f32_e32 v105, v105, v5                               // 000000006F3C: 0AD20B69
	v_mul_f32_e32 v106, v106, v6                               // 000000006F40: 0AD40D6A
	v_mul_f32_e32 v107, v107, v7                               // 000000006F44: 0AD60F6B
	v_mul_f32_e32 v104, v104, v168                             // 000000006F48: 0AD15168
	v_mul_f32_e32 v105, v105, v169                             // 000000006F4C: 0AD35369
	v_mul_f32_e32 v106, v106, v170                             // 000000006F50: 0AD5556A
	v_mul_f32_e32 v107, v107, v171                             // 000000006F54: 0AD7576B
	v_mul_f32_e64 v4, -v108, s6                                // 000000006F58: D1050004 20000D6C
	v_mul_f32_e64 v5, -v109, s6                                // 000000006F60: D1050005 20000D6D
	v_mul_f32_e64 v6, -v110, s6                                // 000000006F68: D1050006 20000D6E
	v_mul_f32_e64 v7, -v111, s6                                // 000000006F70: D1050007 20000D6F
	v_exp_f32_e32 v4, v4                                       // 000000006F78: 7E084104
	v_exp_f32_e32 v5, v5                                       // 000000006F7C: 7E0A4105
	v_exp_f32_e32 v6, v6                                       // 000000006F80: 7E0C4106
	v_exp_f32_e32 v7, v7                                       // 000000006F84: 7E0E4107
	v_add_f32_e64 v4, v4, 1.0                                  // 000000006F88: D1010004 0001E504
	v_add_f32_e64 v5, v5, 1.0                                  // 000000006F90: D1010005 0001E505
	v_add_f32_e64 v6, v6, 1.0                                  // 000000006F98: D1010006 0001E506
	v_add_f32_e64 v7, v7, 1.0                                  // 000000006FA0: D1010007 0001E507
	v_rcp_f32_e32 v4, v4                                       // 000000006FA8: 7E084504
	v_rcp_f32_e32 v5, v5                                       // 000000006FAC: 7E0A4505
	v_rcp_f32_e32 v6, v6                                       // 000000006FB0: 7E0C4506
	v_rcp_f32_e32 v7, v7                                       // 000000006FB4: 7E0E4507
	v_mul_f32_e32 v108, v108, v4                               // 000000006FB8: 0AD8096C
	v_mul_f32_e32 v109, v109, v5                               // 000000006FBC: 0ADA0B6D
	v_mul_f32_e32 v110, v110, v6                               // 000000006FC0: 0ADC0D6E
	v_mul_f32_e32 v111, v111, v7                               // 000000006FC4: 0ADE0F6F
	v_mul_f32_e32 v108, v108, v172                             // 000000006FC8: 0AD9596C
	v_mul_f32_e32 v109, v109, v173                             // 000000006FCC: 0ADB5B6D
	v_mul_f32_e32 v110, v110, v174                             // 000000006FD0: 0ADD5D6E
	v_mul_f32_e32 v111, v111, v175                             // 000000006FD4: 0ADF5F6F
	v_mul_f32_e64 v4, -v112, s6                                // 000000006FD8: D1050004 20000D70
	v_mul_f32_e64 v5, -v113, s6                                // 000000006FE0: D1050005 20000D71
	v_mul_f32_e64 v6, -v114, s6                                // 000000006FE8: D1050006 20000D72
	v_mul_f32_e64 v7, -v115, s6                                // 000000006FF0: D1050007 20000D73
	v_exp_f32_e32 v4, v4                                       // 000000006FF8: 7E084104
	v_exp_f32_e32 v5, v5                                       // 000000006FFC: 7E0A4105
	v_exp_f32_e32 v6, v6                                       // 000000007000: 7E0C4106
	v_exp_f32_e32 v7, v7                                       // 000000007004: 7E0E4107
	v_add_f32_e64 v4, v4, 1.0                                  // 000000007008: D1010004 0001E504
	v_add_f32_e64 v5, v5, 1.0                                  // 000000007010: D1010005 0001E505
	v_add_f32_e64 v6, v6, 1.0                                  // 000000007018: D1010006 0001E506
	v_add_f32_e64 v7, v7, 1.0                                  // 000000007020: D1010007 0001E507
	v_rcp_f32_e32 v4, v4                                       // 000000007028: 7E084504
	v_rcp_f32_e32 v5, v5                                       // 00000000702C: 7E0A4505
	v_rcp_f32_e32 v6, v6                                       // 000000007030: 7E0C4506
	v_rcp_f32_e32 v7, v7                                       // 000000007034: 7E0E4507
	v_mul_f32_e32 v112, v112, v4                               // 000000007038: 0AE00970
	v_mul_f32_e32 v113, v113, v5                               // 00000000703C: 0AE20B71
	v_mul_f32_e32 v114, v114, v6                               // 000000007040: 0AE40D72
	v_mul_f32_e32 v115, v115, v7                               // 000000007044: 0AE60F73
	v_mul_f32_e32 v112, v112, v176                             // 000000007048: 0AE16170
	v_mul_f32_e32 v113, v113, v177                             // 00000000704C: 0AE36371
	v_mul_f32_e32 v114, v114, v178                             // 000000007050: 0AE56572
	v_mul_f32_e32 v115, v115, v179                             // 000000007054: 0AE76773

0000000000007058 <label_1196>:
	v_cmp_u_f32_e64 s[46:47], v52, v52                         // 000000007058: D048002E 00026934
	v_add3_u32 v16, v52, v19, 1                                // 000000007060: D1FF0010 02062734
	v_cndmask_b32_e64 v4, v16, v18, s[46:47]                   // 000000007068: D1000004 00BA2510
	v_cmp_u_f32_e64 s[46:47], v53, v53                         // 000000007070: D048002E 00026B35
	v_add3_u32 v16, v53, v19, 1                                // 000000007078: D1FF0010 02062735
	v_cndmask_b32_e64 v5, v16, v18, s[46:47]                   // 000000007080: D1000005 00BA2510
	v_perm_b32 v52, v5, v4, s52                                // 000000007088: D1ED0034 00D20905
	v_cmp_u_f32_e64 s[46:47], v54, v54                         // 000000007090: D048002E 00026D36
	v_add3_u32 v16, v54, v19, 1                                // 000000007098: D1FF0010 02062736
	v_cndmask_b32_e64 v4, v16, v18, s[46:47]                   // 0000000070A0: D1000004 00BA2510
	v_cmp_u_f32_e64 s[46:47], v55, v55                         // 0000000070A8: D048002E 00026F37
	v_add3_u32 v16, v55, v19, 1                                // 0000000070B0: D1FF0010 02062737
	v_cndmask_b32_e64 v5, v16, v18, s[46:47]                   // 0000000070B8: D1000005 00BA2510
	v_perm_b32 v53, v5, v4, s52                                // 0000000070C0: D1ED0035 00D20905
	v_cmp_u_f32_e64 s[46:47], v56, v56                         // 0000000070C8: D048002E 00027138
	v_add3_u32 v16, v56, v19, 1                                // 0000000070D0: D1FF0010 02062738
	v_cndmask_b32_e64 v4, v16, v18, s[46:47]                   // 0000000070D8: D1000004 00BA2510
	v_cmp_u_f32_e64 s[46:47], v57, v57                         // 0000000070E0: D048002E 00027339
	v_add3_u32 v16, v57, v19, 1                                // 0000000070E8: D1FF0010 02062739
	v_cndmask_b32_e64 v5, v16, v18, s[46:47]                   // 0000000070F0: D1000005 00BA2510
	v_perm_b32 v54, v5, v4, s52                                // 0000000070F8: D1ED0036 00D20905
	v_cmp_u_f32_e64 s[46:47], v58, v58                         // 000000007100: D048002E 0002753A
	v_add3_u32 v16, v58, v19, 1                                // 000000007108: D1FF0010 0206273A
	v_cndmask_b32_e64 v4, v16, v18, s[46:47]                   // 000000007110: D1000004 00BA2510
	v_cmp_u_f32_e64 s[46:47], v59, v59                         // 000000007118: D048002E 0002773B
	v_add3_u32 v16, v59, v19, 1                                // 000000007120: D1FF0010 0206273B
	v_cndmask_b32_e64 v5, v16, v18, s[46:47]                   // 000000007128: D1000005 00BA2510
	v_perm_b32 v55, v5, v4, s52                                // 000000007130: D1ED0037 00D20905
	v_cmp_u_f32_e64 s[46:47], v60, v60                         // 000000007138: D048002E 0002793C
	v_add3_u32 v16, v60, v19, 1                                // 000000007140: D1FF0010 0206273C
	v_cndmask_b32_e64 v4, v16, v18, s[46:47]                   // 000000007148: D1000004 00BA2510
	v_cmp_u_f32_e64 s[46:47], v61, v61                         // 000000007150: D048002E 00027B3D
	v_add3_u32 v16, v61, v19, 1                                // 000000007158: D1FF0010 0206273D
	v_cndmask_b32_e64 v5, v16, v18, s[46:47]                   // 000000007160: D1000005 00BA2510
	v_perm_b32 v56, v5, v4, s52                                // 000000007168: D1ED0038 00D20905
	v_cmp_u_f32_e64 s[46:47], v62, v62                         // 000000007170: D048002E 00027D3E
	v_add3_u32 v16, v62, v19, 1                                // 000000007178: D1FF0010 0206273E
	v_cndmask_b32_e64 v4, v16, v18, s[46:47]                   // 000000007180: D1000004 00BA2510
	v_cmp_u_f32_e64 s[46:47], v63, v63                         // 000000007188: D048002E 00027F3F
	v_add3_u32 v16, v63, v19, 1                                // 000000007190: D1FF0010 0206273F
	v_cndmask_b32_e64 v5, v16, v18, s[46:47]                   // 000000007198: D1000005 00BA2510
	v_perm_b32 v57, v5, v4, s52                                // 0000000071A0: D1ED0039 00D20905
	v_cmp_u_f32_e64 s[46:47], v64, v64                         // 0000000071A8: D048002E 00028140
	v_add3_u32 v16, v64, v19, 1                                // 0000000071B0: D1FF0010 02062740
	v_cndmask_b32_e64 v4, v16, v18, s[46:47]                   // 0000000071B8: D1000004 00BA2510
	v_cmp_u_f32_e64 s[46:47], v65, v65                         // 0000000071C0: D048002E 00028341
	v_add3_u32 v16, v65, v19, 1                                // 0000000071C8: D1FF0010 02062741
	v_cndmask_b32_e64 v5, v16, v18, s[46:47]                   // 0000000071D0: D1000005 00BA2510
	v_perm_b32 v58, v5, v4, s52                                // 0000000071D8: D1ED003A 00D20905
	v_cmp_u_f32_e64 s[46:47], v66, v66                         // 0000000071E0: D048002E 00028542
	v_add3_u32 v16, v66, v19, 1                                // 0000000071E8: D1FF0010 02062742
	v_cndmask_b32_e64 v4, v16, v18, s[46:47]                   // 0000000071F0: D1000004 00BA2510
	v_cmp_u_f32_e64 s[46:47], v67, v67                         // 0000000071F8: D048002E 00028743
	v_add3_u32 v16, v67, v19, 1                                // 000000007200: D1FF0010 02062743
	v_cndmask_b32_e64 v5, v16, v18, s[46:47]                   // 000000007208: D1000005 00BA2510
	v_perm_b32 v59, v5, v4, s52                                // 000000007210: D1ED003B 00D20905
	v_cmp_u_f32_e64 s[46:47], v68, v68                         // 000000007218: D048002E 00028944
	v_add3_u32 v16, v68, v19, 1                                // 000000007220: D1FF0010 02062744
	v_cndmask_b32_e64 v4, v16, v18, s[46:47]                   // 000000007228: D1000004 00BA2510
	v_cmp_u_f32_e64 s[46:47], v69, v69                         // 000000007230: D048002E 00028B45
	v_add3_u32 v16, v69, v19, 1                                // 000000007238: D1FF0010 02062745
	v_cndmask_b32_e64 v5, v16, v18, s[46:47]                   // 000000007240: D1000005 00BA2510
	v_perm_b32 v60, v5, v4, s52                                // 000000007248: D1ED003C 00D20905
	v_cmp_u_f32_e64 s[46:47], v70, v70                         // 000000007250: D048002E 00028D46
	v_add3_u32 v16, v70, v19, 1                                // 000000007258: D1FF0010 02062746
	v_cndmask_b32_e64 v4, v16, v18, s[46:47]                   // 000000007260: D1000004 00BA2510
	v_cmp_u_f32_e64 s[46:47], v71, v71                         // 000000007268: D048002E 00028F47
	v_add3_u32 v16, v71, v19, 1                                // 000000007270: D1FF0010 02062747
	v_cndmask_b32_e64 v5, v16, v18, s[46:47]                   // 000000007278: D1000005 00BA2510
	v_perm_b32 v61, v5, v4, s52                                // 000000007280: D1ED003D 00D20905
	v_cmp_u_f32_e64 s[46:47], v72, v72                         // 000000007288: D048002E 00029148
	v_add3_u32 v16, v72, v19, 1                                // 000000007290: D1FF0010 02062748
	v_cndmask_b32_e64 v4, v16, v18, s[46:47]                   // 000000007298: D1000004 00BA2510
	v_cmp_u_f32_e64 s[46:47], v73, v73                         // 0000000072A0: D048002E 00029349
	v_add3_u32 v16, v73, v19, 1                                // 0000000072A8: D1FF0010 02062749
	v_cndmask_b32_e64 v5, v16, v18, s[46:47]                   // 0000000072B0: D1000005 00BA2510
	v_perm_b32 v62, v5, v4, s52                                // 0000000072B8: D1ED003E 00D20905
	v_cmp_u_f32_e64 s[46:47], v74, v74                         // 0000000072C0: D048002E 0002954A
	v_add3_u32 v16, v74, v19, 1                                // 0000000072C8: D1FF0010 0206274A
	v_cndmask_b32_e64 v4, v16, v18, s[46:47]                   // 0000000072D0: D1000004 00BA2510
	v_cmp_u_f32_e64 s[46:47], v75, v75                         // 0000000072D8: D048002E 0002974B
	v_add3_u32 v16, v75, v19, 1                                // 0000000072E0: D1FF0010 0206274B
	v_cndmask_b32_e64 v5, v16, v18, s[46:47]                   // 0000000072E8: D1000005 00BA2510
	v_perm_b32 v63, v5, v4, s52                                // 0000000072F0: D1ED003F 00D20905
	v_cmp_u_f32_e64 s[46:47], v76, v76                         // 0000000072F8: D048002E 0002994C
	v_add3_u32 v16, v76, v19, 1                                // 000000007300: D1FF0010 0206274C
	v_cndmask_b32_e64 v4, v16, v18, s[46:47]                   // 000000007308: D1000004 00BA2510
	v_cmp_u_f32_e64 s[46:47], v77, v77                         // 000000007310: D048002E 00029B4D
	v_add3_u32 v16, v77, v19, 1                                // 000000007318: D1FF0010 0206274D
	v_cndmask_b32_e64 v5, v16, v18, s[46:47]                   // 000000007320: D1000005 00BA2510
	v_perm_b32 v64, v5, v4, s52                                // 000000007328: D1ED0040 00D20905
	v_cmp_u_f32_e64 s[46:47], v78, v78                         // 000000007330: D048002E 00029D4E
	v_add3_u32 v16, v78, v19, 1                                // 000000007338: D1FF0010 0206274E
	v_cndmask_b32_e64 v4, v16, v18, s[46:47]                   // 000000007340: D1000004 00BA2510
	v_cmp_u_f32_e64 s[46:47], v79, v79                         // 000000007348: D048002E 00029F4F
	v_add3_u32 v16, v79, v19, 1                                // 000000007350: D1FF0010 0206274F
	v_cndmask_b32_e64 v5, v16, v18, s[46:47]                   // 000000007358: D1000005 00BA2510
	v_perm_b32 v65, v5, v4, s52                                // 000000007360: D1ED0041 00D20905
	v_cmp_u_f32_e64 s[46:47], v80, v80                         // 000000007368: D048002E 0002A150
	v_add3_u32 v16, v80, v19, 1                                // 000000007370: D1FF0010 02062750
	v_cndmask_b32_e64 v4, v16, v18, s[46:47]                   // 000000007378: D1000004 00BA2510
	v_cmp_u_f32_e64 s[46:47], v81, v81                         // 000000007380: D048002E 0002A351
	v_add3_u32 v16, v81, v19, 1                                // 000000007388: D1FF0010 02062751
	v_cndmask_b32_e64 v5, v16, v18, s[46:47]                   // 000000007390: D1000005 00BA2510
	v_perm_b32 v66, v5, v4, s52                                // 000000007398: D1ED0042 00D20905
	v_cmp_u_f32_e64 s[46:47], v82, v82                         // 0000000073A0: D048002E 0002A552
	v_add3_u32 v16, v82, v19, 1                                // 0000000073A8: D1FF0010 02062752
	v_cndmask_b32_e64 v4, v16, v18, s[46:47]                   // 0000000073B0: D1000004 00BA2510
	v_cmp_u_f32_e64 s[46:47], v83, v83                         // 0000000073B8: D048002E 0002A753
	v_add3_u32 v16, v83, v19, 1                                // 0000000073C0: D1FF0010 02062753
	v_cndmask_b32_e64 v5, v16, v18, s[46:47]                   // 0000000073C8: D1000005 00BA2510
	v_perm_b32 v67, v5, v4, s52                                // 0000000073D0: D1ED0043 00D20905
	v_cmp_u_f32_e64 s[46:47], v84, v84                         // 0000000073D8: D048002E 0002A954
	v_add3_u32 v16, v84, v19, 1                                // 0000000073E0: D1FF0010 02062754
	v_cndmask_b32_e64 v4, v16, v18, s[46:47]                   // 0000000073E8: D1000004 00BA2510
	v_cmp_u_f32_e64 s[46:47], v85, v85                         // 0000000073F0: D048002E 0002AB55
	v_add3_u32 v16, v85, v19, 1                                // 0000000073F8: D1FF0010 02062755
	v_cndmask_b32_e64 v5, v16, v18, s[46:47]                   // 000000007400: D1000005 00BA2510
	v_perm_b32 v68, v5, v4, s52                                // 000000007408: D1ED0044 00D20905
	v_cmp_u_f32_e64 s[46:47], v86, v86                         // 000000007410: D048002E 0002AD56
	v_add3_u32 v16, v86, v19, 1                                // 000000007418: D1FF0010 02062756
	v_cndmask_b32_e64 v4, v16, v18, s[46:47]                   // 000000007420: D1000004 00BA2510
	v_cmp_u_f32_e64 s[46:47], v87, v87                         // 000000007428: D048002E 0002AF57
	v_add3_u32 v16, v87, v19, 1                                // 000000007430: D1FF0010 02062757
	v_cndmask_b32_e64 v5, v16, v18, s[46:47]                   // 000000007438: D1000005 00BA2510
	v_perm_b32 v69, v5, v4, s52                                // 000000007440: D1ED0045 00D20905
	v_cmp_u_f32_e64 s[46:47], v88, v88                         // 000000007448: D048002E 0002B158
	v_add3_u32 v16, v88, v19, 1                                // 000000007450: D1FF0010 02062758
	v_cndmask_b32_e64 v4, v16, v18, s[46:47]                   // 000000007458: D1000004 00BA2510
	v_cmp_u_f32_e64 s[46:47], v89, v89                         // 000000007460: D048002E 0002B359
	v_add3_u32 v16, v89, v19, 1                                // 000000007468: D1FF0010 02062759
	v_cndmask_b32_e64 v5, v16, v18, s[46:47]                   // 000000007470: D1000005 00BA2510
	v_perm_b32 v70, v5, v4, s52                                // 000000007478: D1ED0046 00D20905
	v_cmp_u_f32_e64 s[46:47], v90, v90                         // 000000007480: D048002E 0002B55A
	v_add3_u32 v16, v90, v19, 1                                // 000000007488: D1FF0010 0206275A
	v_cndmask_b32_e64 v4, v16, v18, s[46:47]                   // 000000007490: D1000004 00BA2510
	v_cmp_u_f32_e64 s[46:47], v91, v91                         // 000000007498: D048002E 0002B75B
	v_add3_u32 v16, v91, v19, 1                                // 0000000074A0: D1FF0010 0206275B
	v_cndmask_b32_e64 v5, v16, v18, s[46:47]                   // 0000000074A8: D1000005 00BA2510
	v_perm_b32 v71, v5, v4, s52                                // 0000000074B0: D1ED0047 00D20905
	v_cmp_u_f32_e64 s[46:47], v92, v92                         // 0000000074B8: D048002E 0002B95C
	v_add3_u32 v16, v92, v19, 1                                // 0000000074C0: D1FF0010 0206275C
	v_cndmask_b32_e64 v4, v16, v18, s[46:47]                   // 0000000074C8: D1000004 00BA2510
	v_cmp_u_f32_e64 s[46:47], v93, v93                         // 0000000074D0: D048002E 0002BB5D
	v_add3_u32 v16, v93, v19, 1                                // 0000000074D8: D1FF0010 0206275D
	v_cndmask_b32_e64 v5, v16, v18, s[46:47]                   // 0000000074E0: D1000005 00BA2510
	v_perm_b32 v72, v5, v4, s52                                // 0000000074E8: D1ED0048 00D20905
	v_cmp_u_f32_e64 s[46:47], v94, v94                         // 0000000074F0: D048002E 0002BD5E
	v_add3_u32 v16, v94, v19, 1                                // 0000000074F8: D1FF0010 0206275E
	v_cndmask_b32_e64 v4, v16, v18, s[46:47]                   // 000000007500: D1000004 00BA2510
	v_cmp_u_f32_e64 s[46:47], v95, v95                         // 000000007508: D048002E 0002BF5F
	v_add3_u32 v16, v95, v19, 1                                // 000000007510: D1FF0010 0206275F
	v_cndmask_b32_e64 v5, v16, v18, s[46:47]                   // 000000007518: D1000005 00BA2510
	v_perm_b32 v73, v5, v4, s52                                // 000000007520: D1ED0049 00D20905
	v_cmp_u_f32_e64 s[46:47], v96, v96                         // 000000007528: D048002E 0002C160
	v_add3_u32 v16, v96, v19, 1                                // 000000007530: D1FF0010 02062760
	v_cndmask_b32_e64 v4, v16, v18, s[46:47]                   // 000000007538: D1000004 00BA2510
	v_cmp_u_f32_e64 s[46:47], v97, v97                         // 000000007540: D048002E 0002C361
	v_add3_u32 v16, v97, v19, 1                                // 000000007548: D1FF0010 02062761
	v_cndmask_b32_e64 v5, v16, v18, s[46:47]                   // 000000007550: D1000005 00BA2510
	v_perm_b32 v74, v5, v4, s52                                // 000000007558: D1ED004A 00D20905
	v_cmp_u_f32_e64 s[46:47], v98, v98                         // 000000007560: D048002E 0002C562
	v_add3_u32 v16, v98, v19, 1                                // 000000007568: D1FF0010 02062762
	v_cndmask_b32_e64 v4, v16, v18, s[46:47]                   // 000000007570: D1000004 00BA2510
	v_cmp_u_f32_e64 s[46:47], v99, v99                         // 000000007578: D048002E 0002C763
	v_add3_u32 v16, v99, v19, 1                                // 000000007580: D1FF0010 02062763
	v_cndmask_b32_e64 v5, v16, v18, s[46:47]                   // 000000007588: D1000005 00BA2510
	v_perm_b32 v75, v5, v4, s52                                // 000000007590: D1ED004B 00D20905
	v_cmp_u_f32_e64 s[46:47], v100, v100                       // 000000007598: D048002E 0002C964
	v_add3_u32 v16, v100, v19, 1                               // 0000000075A0: D1FF0010 02062764
	v_cndmask_b32_e64 v4, v16, v18, s[46:47]                   // 0000000075A8: D1000004 00BA2510
	v_cmp_u_f32_e64 s[46:47], v101, v101                       // 0000000075B0: D048002E 0002CB65
	v_add3_u32 v16, v101, v19, 1                               // 0000000075B8: D1FF0010 02062765
	v_cndmask_b32_e64 v5, v16, v18, s[46:47]                   // 0000000075C0: D1000005 00BA2510
	v_perm_b32 v76, v5, v4, s52                                // 0000000075C8: D1ED004C 00D20905
	v_cmp_u_f32_e64 s[46:47], v102, v102                       // 0000000075D0: D048002E 0002CD66
	v_add3_u32 v16, v102, v19, 1                               // 0000000075D8: D1FF0010 02062766
	v_cndmask_b32_e64 v4, v16, v18, s[46:47]                   // 0000000075E0: D1000004 00BA2510
	v_cmp_u_f32_e64 s[46:47], v103, v103                       // 0000000075E8: D048002E 0002CF67
	v_add3_u32 v16, v103, v19, 1                               // 0000000075F0: D1FF0010 02062767
	v_cndmask_b32_e64 v5, v16, v18, s[46:47]                   // 0000000075F8: D1000005 00BA2510
	v_perm_b32 v77, v5, v4, s52                                // 000000007600: D1ED004D 00D20905
	v_cmp_u_f32_e64 s[46:47], v104, v104                       // 000000007608: D048002E 0002D168
	v_add3_u32 v16, v104, v19, 1                               // 000000007610: D1FF0010 02062768
	v_cndmask_b32_e64 v4, v16, v18, s[46:47]                   // 000000007618: D1000004 00BA2510
	v_cmp_u_f32_e64 s[46:47], v105, v105                       // 000000007620: D048002E 0002D369
	v_add3_u32 v16, v105, v19, 1                               // 000000007628: D1FF0010 02062769
	v_cndmask_b32_e64 v5, v16, v18, s[46:47]                   // 000000007630: D1000005 00BA2510
	v_perm_b32 v78, v5, v4, s52                                // 000000007638: D1ED004E 00D20905
	v_cmp_u_f32_e64 s[46:47], v106, v106                       // 000000007640: D048002E 0002D56A
	v_add3_u32 v16, v106, v19, 1                               // 000000007648: D1FF0010 0206276A
	v_cndmask_b32_e64 v4, v16, v18, s[46:47]                   // 000000007650: D1000004 00BA2510
	v_cmp_u_f32_e64 s[46:47], v107, v107                       // 000000007658: D048002E 0002D76B
	v_add3_u32 v16, v107, v19, 1                               // 000000007660: D1FF0010 0206276B
	v_cndmask_b32_e64 v5, v16, v18, s[46:47]                   // 000000007668: D1000005 00BA2510
	v_perm_b32 v79, v5, v4, s52                                // 000000007670: D1ED004F 00D20905
	v_cmp_u_f32_e64 s[46:47], v108, v108                       // 000000007678: D048002E 0002D96C
	v_add3_u32 v16, v108, v19, 1                               // 000000007680: D1FF0010 0206276C
	v_cndmask_b32_e64 v4, v16, v18, s[46:47]                   // 000000007688: D1000004 00BA2510
	v_cmp_u_f32_e64 s[46:47], v109, v109                       // 000000007690: D048002E 0002DB6D
	v_add3_u32 v16, v109, v19, 1                               // 000000007698: D1FF0010 0206276D
	v_cndmask_b32_e64 v5, v16, v18, s[46:47]                   // 0000000076A0: D1000005 00BA2510
	v_perm_b32 v80, v5, v4, s52                                // 0000000076A8: D1ED0050 00D20905
	v_cmp_u_f32_e64 s[46:47], v110, v110                       // 0000000076B0: D048002E 0002DD6E
	v_add3_u32 v16, v110, v19, 1                               // 0000000076B8: D1FF0010 0206276E
	v_cndmask_b32_e64 v4, v16, v18, s[46:47]                   // 0000000076C0: D1000004 00BA2510
	v_cmp_u_f32_e64 s[46:47], v111, v111                       // 0000000076C8: D048002E 0002DF6F
	v_add3_u32 v16, v111, v19, 1                               // 0000000076D0: D1FF0010 0206276F
	v_cndmask_b32_e64 v5, v16, v18, s[46:47]                   // 0000000076D8: D1000005 00BA2510
	v_perm_b32 v81, v5, v4, s52                                // 0000000076E0: D1ED0051 00D20905
	v_cmp_u_f32_e64 s[46:47], v112, v112                       // 0000000076E8: D048002E 0002E170
	v_add3_u32 v16, v112, v19, 1                               // 0000000076F0: D1FF0010 02062770
	v_cndmask_b32_e64 v4, v16, v18, s[46:47]                   // 0000000076F8: D1000004 00BA2510
	v_cmp_u_f32_e64 s[46:47], v113, v113                       // 000000007700: D048002E 0002E371
	v_add3_u32 v16, v113, v19, 1                               // 000000007708: D1FF0010 02062771
	v_cndmask_b32_e64 v5, v16, v18, s[46:47]                   // 000000007710: D1000005 00BA2510
	v_perm_b32 v82, v5, v4, s52                                // 000000007718: D1ED0052 00D20905
	v_cmp_u_f32_e64 s[46:47], v114, v114                       // 000000007720: D048002E 0002E572
	v_add3_u32 v16, v114, v19, 1                               // 000000007728: D1FF0010 02062772
	v_cndmask_b32_e64 v4, v16, v18, s[46:47]                   // 000000007730: D1000004 00BA2510
	v_cmp_u_f32_e64 s[46:47], v115, v115                       // 000000007738: D048002E 0002E773
	v_add3_u32 v16, v115, v19, 1                               // 000000007740: D1FF0010 02062773
	v_cndmask_b32_e64 v5, v16, v18, s[46:47]                   // 000000007748: D1000005 00BA2510
	v_perm_b32 v83, v5, v4, s52                                // 000000007750: D1ED0053 00D20905
	ds_write_b64 v20, v[52:53]                                 // 000000007758: D89A0000 00003414
	ds_write_b64 v20, v[54:55] offset:17408                    // 000000007760: D89A4400 00003614
	ds_write_b64 v20, v[56:57] offset:2176                     // 000000007768: D89A0880 00003814
	ds_write_b64 v20, v[58:59] offset:19584                    // 000000007770: D89A4C80 00003A14
	ds_write_b64 v20, v[60:61] offset:4352                     // 000000007778: D89A1100 00003C14
	ds_write_b64 v20, v[62:63] offset:21760                    // 000000007780: D89A5500 00003E14
	ds_write_b64 v20, v[64:65] offset:6528                     // 000000007788: D89A1980 00004014
	ds_write_b64 v20, v[66:67] offset:23936                    // 000000007790: D89A5D80 00004214
	ds_write_b64 v20, v[68:69] offset:8704                     // 000000007798: D89A2200 00004414
	ds_write_b64 v20, v[70:71] offset:26112                    // 0000000077A0: D89A6600 00004614
	ds_write_b64 v20, v[72:73] offset:10880                    // 0000000077A8: D89A2A80 00004814
	ds_write_b64 v20, v[74:75] offset:28288                    // 0000000077B0: D89A6E80 00004A14
	ds_write_b64 v20, v[76:77] offset:13056                    // 0000000077B8: D89A3300 00004C14
	ds_write_b64 v20, v[78:79] offset:30464                    // 0000000077C0: D89A7700 00004E14
	ds_write_b64 v20, v[80:81] offset:15232                    // 0000000077C8: D89A3B80 00005014
	ds_write_b64 v20, v[82:83] offset:32640                    // 0000000077D0: D89A7F80 00005214
	v_lshrrev_b32_e32 v4, 5, v0                                // 0000000077D8: 20080085
	v_xor_b32_e32 v5, 1, v4                                    // 0000000077DC: 2A0A0881
	s_mul_i32 s60, s65, 2                                      // 0000000077E0: 923C8241
	s_cmp_eq_u32 s88, 0                                        // 0000000077E4: BF068058
	s_cselect_b32 s61, 1, 4                                    // 0000000077E8: 853D8481
	s_mul_i32 s60, s61, s60                                    // 0000000077EC: 923C3C3D
	v_readlane_b32 s82, v3, 0                                  // 0000000077F0: D2890052 00010103
	s_lshr_b32 s61, s82, 24                                    // 0000000077F8: 8F3D9852
	s_and_b32 s82, s82, 0xffffff                               // 0000000077FC: 8652FF52 00FFFFFF
	s_mul_i32 s82, s82, s71                                    // 000000007804: 92524752
	s_mul_i32 s61, s60, s61                                    // 000000007808: 923D3D3C
	s_add_u32 s82, s82, s61                                    // 00000000780C: 80523D52
	v_mul_lo_u32 v6, v5, s82                                   // 000000007810: D2850006 0000A505
	v_readlane_b32 s82, v3, 1                                  // 000000007818: D2890052 00010303
	s_lshr_b32 s61, s82, 24                                    // 000000007820: 8F3D9852
	s_and_b32 s82, s82, 0xffffff                               // 000000007824: 8652FF52 00FFFFFF
	s_mul_i32 s82, s82, s71                                    // 00000000782C: 92524752
	s_mul_i32 s61, s60, s61                                    // 000000007830: 923D3D3C
	s_add_u32 s82, s82, s61                                    // 000000007834: 80523D52
	v_mul_lo_u32 v7, v4, s82                                   // 000000007838: D2850007 0000A504
	v_add_u32_e32 v39, v6, v7                                  // 000000007840: 684E0F06
	v_readlane_b32 s82, v3, 2                                  // 000000007844: D2890052 00010503
	s_lshr_b32 s61, s82, 24                                    // 00000000784C: 8F3D9852
	s_and_b32 s82, s82, 0xffffff                               // 000000007850: 8652FF52 00FFFFFF
	s_mul_i32 s82, s82, s71                                    // 000000007858: 92524752
	s_mul_i32 s61, s60, s61                                    // 00000000785C: 923D3D3C
	s_add_u32 s82, s82, s61                                    // 000000007860: 80523D52
	v_mul_lo_u32 v6, v5, s82                                   // 000000007864: D2850006 0000A505
	v_readlane_b32 s82, v3, 3                                  // 00000000786C: D2890052 00010703
	s_lshr_b32 s61, s82, 24                                    // 000000007874: 8F3D9852
	s_and_b32 s82, s82, 0xffffff                               // 000000007878: 8652FF52 00FFFFFF
	s_mul_i32 s82, s82, s71                                    // 000000007880: 92524752
	s_mul_i32 s61, s60, s61                                    // 000000007884: 923D3D3C
	s_add_u32 s82, s82, s61                                    // 000000007888: 80523D52
	v_mul_lo_u32 v7, v4, s82                                   // 00000000788C: D2850007 0000A504
	v_add_u32_e32 v40, v6, v7                                  // 000000007894: 68500F06
	v_readlane_b32 s82, v3, 4                                  // 000000007898: D2890052 00010903
	s_lshr_b32 s61, s82, 24                                    // 0000000078A0: 8F3D9852
	s_and_b32 s82, s82, 0xffffff                               // 0000000078A4: 8652FF52 00FFFFFF
	s_mul_i32 s82, s82, s71                                    // 0000000078AC: 92524752
	s_mul_i32 s61, s60, s61                                    // 0000000078B0: 923D3D3C
	s_add_u32 s82, s82, s61                                    // 0000000078B4: 80523D52
	v_mul_lo_u32 v6, v5, s82                                   // 0000000078B8: D2850006 0000A505
	v_readlane_b32 s82, v3, 5                                  // 0000000078C0: D2890052 00010B03
	s_lshr_b32 s61, s82, 24                                    // 0000000078C8: 8F3D9852
	s_and_b32 s82, s82, 0xffffff                               // 0000000078CC: 8652FF52 00FFFFFF
	s_mul_i32 s82, s82, s71                                    // 0000000078D4: 92524752
	s_mul_i32 s61, s60, s61                                    // 0000000078D8: 923D3D3C
	s_add_u32 s82, s82, s61                                    // 0000000078DC: 80523D52
	v_mul_lo_u32 v7, v4, s82                                   // 0000000078E0: D2850007 0000A504
	v_add_u32_e32 v41, v6, v7                                  // 0000000078E8: 68520F06
	v_readlane_b32 s82, v3, 6                                  // 0000000078EC: D2890052 00010D03
	s_lshr_b32 s61, s82, 24                                    // 0000000078F4: 8F3D9852
	s_and_b32 s82, s82, 0xffffff                               // 0000000078F8: 8652FF52 00FFFFFF
	s_mul_i32 s82, s82, s71                                    // 000000007900: 92524752
	s_mul_i32 s61, s60, s61                                    // 000000007904: 923D3D3C
	s_add_u32 s82, s82, s61                                    // 000000007908: 80523D52
	v_mul_lo_u32 v6, v5, s82                                   // 00000000790C: D2850006 0000A505
	v_readlane_b32 s82, v3, 7                                  // 000000007914: D2890052 00010F03
	s_lshr_b32 s61, s82, 24                                    // 00000000791C: 8F3D9852
	s_and_b32 s82, s82, 0xffffff                               // 000000007920: 8652FF52 00FFFFFF
	s_mul_i32 s82, s82, s71                                    // 000000007928: 92524752
	s_mul_i32 s61, s60, s61                                    // 00000000792C: 923D3D3C
	s_add_u32 s82, s82, s61                                    // 000000007930: 80523D52
	v_mul_lo_u32 v7, v4, s82                                   // 000000007934: D2850007 0000A504
	v_add_u32_e32 v42, v6, v7                                  // 00000000793C: 68540F06
	v_and_b32_e32 v4, 31, v0                                   // 000000007940: 2608009F
	v_lshrrev_b32_e32 v4, 1, v4                                // 000000007944: 20080881
	s_cmp_eq_u32 s88, 0                                        // 000000007948: BF068058
	s_cselect_b32 s61, 2, 4                                    // 00000000794C: 853D8482
	v_mul_lo_u32 v4, v4, s61                                   // 000000007950: D2850004 00007B04
	v_and_b32_e64 v5, v0, 1                                    // 000000007958: D1130005 00010300
	v_add_u32_e32 v4, v4, v5                                   // 000000007960: 68080B04
	v_lshlrev_b32_e32 v4, 2, v4                                // 000000007964: 24080882
	v_add_u32_e32 v39, v39, v4                                 // 000000007968: 684E0927
	v_add_u32_e32 v40, v40, v4                                 // 00000000796C: 68500928
	v_add_u32_e32 v41, v41, v4                                 // 000000007970: 68520929
	v_add_u32_e32 v42, v42, v4                                 // 000000007974: 6854092A
	s_waitcnt lgkmcnt(0)                                       // 000000007978: BF8CC07F
	s_barrier                                                  // 00000000797C: BF8A0000
	ds_read_b32 v52, v21                                       // 000000007980: D86C0000 34000015
	ds_read_b32 v53, v21 offset:64                             // 000000007988: D86C0040 35000015
	ds_read_b32 v54, v21 offset:2176                           // 000000007990: D86C0880 36000015
	ds_read_b32 v55, v21 offset:2240                           // 000000007998: D86C08C0 37000015
	ds_read_b32 v56, v21 offset:4352                           // 0000000079A0: D86C1100 38000015
	ds_read_b32 v57, v21 offset:4416                           // 0000000079A8: D86C1140 39000015
	ds_read_b32 v58, v21 offset:6528                           // 0000000079B0: D86C1980 3A000015
	ds_read_b32 v59, v21 offset:6592                           // 0000000079B8: D86C19C0 3B000015
	ds_read_b32 v60, v21 offset:8704                           // 0000000079C0: D86C2200 3C000015
	ds_read_b32 v61, v21 offset:8768                           // 0000000079C8: D86C2240 3D000015
	ds_read_b32 v62, v21 offset:10880                          // 0000000079D0: D86C2A80 3E000015
	ds_read_b32 v63, v21 offset:10944                          // 0000000079D8: D86C2AC0 3F000015
	ds_read_b32 v64, v21 offset:13056                          // 0000000079E0: D86C3300 40000015
	ds_read_b32 v65, v21 offset:13120                          // 0000000079E8: D86C3340 41000015
	ds_read_b32 v66, v21 offset:15232                          // 0000000079F0: D86C3B80 42000015
	ds_read_b32 v67, v21 offset:15296                          // 0000000079F8: D86C3BC0 43000015
	ds_read_b32 v68, v21 offset:17408                          // 000000007A00: D86C4400 44000015
	ds_read_b32 v69, v21 offset:17472                          // 000000007A08: D86C4440 45000015
	ds_read_b32 v70, v21 offset:19584                          // 000000007A10: D86C4C80 46000015
	ds_read_b32 v71, v21 offset:19648                          // 000000007A18: D86C4CC0 47000015
	ds_read_b32 v72, v21 offset:21760                          // 000000007A20: D86C5500 48000015
	ds_read_b32 v73, v21 offset:21824                          // 000000007A28: D86C5540 49000015
	ds_read_b32 v74, v21 offset:23936                          // 000000007A30: D86C5D80 4A000015
	ds_read_b32 v75, v21 offset:24000                          // 000000007A38: D86C5DC0 4B000015
	ds_read_b32 v76, v21 offset:26112                          // 000000007A40: D86C6600 4C000015
	ds_read_b32 v77, v21 offset:26176                          // 000000007A48: D86C6640 4D000015
	ds_read_b32 v78, v21 offset:28288                          // 000000007A50: D86C6E80 4E000015
	ds_read_b32 v79, v21 offset:28352                          // 000000007A58: D86C6EC0 4F000015
	ds_read_b32 v80, v21 offset:30464                          // 000000007A60: D86C7700 50000015
	ds_read_b32 v81, v21 offset:30528                          // 000000007A68: D86C7740 51000015
	ds_read_b32 v82, v21 offset:32640                          // 000000007A70: D86C7F80 52000015
	ds_read_b32 v83, v21 offset:32704                          // 000000007A78: D86C7FC0 53000015
	s_waitcnt lgkmcnt(0)                                       // 000000007A80: BF8CC07F
	s_mov_b32 s36, -1                                          // 000000007A84: BEA400C1
	s_mov_b32 s37, -1                                          // 000000007A88: BEA500C1
	v_mov_b32_e32 v7, 0                                        // 000000007A8C: 7E0E0280
	s_or_b32 s9, s9, 0x40000                                   // 000000007A90: 8709FF09 00040000
	s_mov_b64 exec, s[36:37]                                   // 000000007A98: BEFE0124
	v_mov_b32_e32 v6, v39                                      // 000000007A9C: 7E0C0327
	s_mov_b64 s[60:61], 0                                      // 000000007AA0: BEBC0180
	v_readlane_b32 s82, v3, 0                                  // 000000007AA4: D2890052 00010103
	s_and_b32 s82, s82, 0xffffff                               // 000000007AAC: 8652FF52 00FFFFFF
	s_cmp_lt_u32 s82, s66                                      // 000000007AB4: BF0A4252
	s_cselect_b32 s20, s36, s60                                // 000000007AB8: 85143C24
	v_readlane_b32 s82, v3, 1                                  // 000000007ABC: D2890052 00010303
	s_and_b32 s82, s82, 0xffffff                               // 000000007AC4: 8652FF52 00FFFFFF
	s_cmp_lt_u32 s82, s66                                      // 000000007ACC: BF0A4252
	s_cselect_b32 s21, s36, s60                                // 000000007AD0: 85153C24
	s_mov_b64 exec, s[20:21]                                   // 000000007AD4: BEFE0114
	buffer_store_dword v52, v6, s[8:11], 0 offen               // 000000007AD8: E0701000 80023406
	buffer_store_dword v54, v6, s[8:11], 0 offen offset:128    // 000000007AE0: E0701080 80023606
	buffer_store_dword v56, v6, s[8:11], 0 offen offset:256    // 000000007AE8: E0701100 80023806
	buffer_store_dword v58, v6, s[8:11], 0 offen offset:384    // 000000007AF0: E0701180 80023A06
	buffer_store_dword v60, v6, s[8:11], 0 offen offset:512    // 000000007AF8: E0701200 80023C06
	buffer_store_dword v62, v6, s[8:11], 0 offen offset:640    // 000000007B00: E0701280 80023E06
	buffer_store_dword v64, v6, s[8:11], 0 offen offset:768    // 000000007B08: E0701300 80024006
	buffer_store_dword v66, v6, s[8:11], 0 offen offset:896    // 000000007B10: E0701380 80024206
	s_mov_b64 exec, s[36:37]                                   // 000000007B18: BEFE0124
	v_mov_b32_e32 v6, v40                                      // 000000007B1C: 7E0C0328
	s_mov_b64 s[60:61], 0                                      // 000000007B20: BEBC0180
	v_readlane_b32 s82, v3, 2                                  // 000000007B24: D2890052 00010503
	s_and_b32 s82, s82, 0xffffff                               // 000000007B2C: 8652FF52 00FFFFFF
	s_cmp_lt_u32 s82, s66                                      // 000000007B34: BF0A4252
	s_cselect_b32 s20, s36, s60                                // 000000007B38: 85143C24
	v_readlane_b32 s82, v3, 3                                  // 000000007B3C: D2890052 00010703
	s_and_b32 s82, s82, 0xffffff                               // 000000007B44: 8652FF52 00FFFFFF
	s_cmp_lt_u32 s82, s66                                      // 000000007B4C: BF0A4252
	s_cselect_b32 s21, s36, s60                                // 000000007B50: 85153C24
	s_mov_b64 exec, s[20:21]                                   // 000000007B54: BEFE0114
	buffer_store_dword v53, v6, s[8:11], 0 offen               // 000000007B58: E0701000 80023506
	buffer_store_dword v55, v6, s[8:11], 0 offen offset:128    // 000000007B60: E0701080 80023706
	buffer_store_dword v57, v6, s[8:11], 0 offen offset:256    // 000000007B68: E0701100 80023906
	buffer_store_dword v59, v6, s[8:11], 0 offen offset:384    // 000000007B70: E0701180 80023B06
	buffer_store_dword v61, v6, s[8:11], 0 offen offset:512    // 000000007B78: E0701200 80023D06
	buffer_store_dword v63, v6, s[8:11], 0 offen offset:640    // 000000007B80: E0701280 80023F06
	buffer_store_dword v65, v6, s[8:11], 0 offen offset:768    // 000000007B88: E0701300 80024106
	buffer_store_dword v67, v6, s[8:11], 0 offen offset:896    // 000000007B90: E0701380 80024306
	s_mov_b64 exec, s[36:37]                                   // 000000007B98: BEFE0124
	v_mov_b32_e32 v6, v41                                      // 000000007B9C: 7E0C0329
	s_mov_b64 s[60:61], 0                                      // 000000007BA0: BEBC0180
	v_readlane_b32 s82, v3, 4                                  // 000000007BA4: D2890052 00010903
	s_and_b32 s82, s82, 0xffffff                               // 000000007BAC: 8652FF52 00FFFFFF
	s_cmp_lt_u32 s82, s66                                      // 000000007BB4: BF0A4252
	s_cselect_b32 s20, s36, s60                                // 000000007BB8: 85143C24
	v_readlane_b32 s82, v3, 5                                  // 000000007BBC: D2890052 00010B03
	s_and_b32 s82, s82, 0xffffff                               // 000000007BC4: 8652FF52 00FFFFFF
	s_cmp_lt_u32 s82, s66                                      // 000000007BCC: BF0A4252
	s_cselect_b32 s21, s36, s60                                // 000000007BD0: 85153C24
	s_mov_b64 exec, s[20:21]                                   // 000000007BD4: BEFE0114
	buffer_store_dword v68, v6, s[8:11], 0 offen               // 000000007BD8: E0701000 80024406
	buffer_store_dword v70, v6, s[8:11], 0 offen offset:128    // 000000007BE0: E0701080 80024606
	buffer_store_dword v72, v6, s[8:11], 0 offen offset:256    // 000000007BE8: E0701100 80024806
	buffer_store_dword v74, v6, s[8:11], 0 offen offset:384    // 000000007BF0: E0701180 80024A06
	buffer_store_dword v76, v6, s[8:11], 0 offen offset:512    // 000000007BF8: E0701200 80024C06
	buffer_store_dword v78, v6, s[8:11], 0 offen offset:640    // 000000007C00: E0701280 80024E06
	buffer_store_dword v80, v6, s[8:11], 0 offen offset:768    // 000000007C08: E0701300 80025006
	buffer_store_dword v82, v6, s[8:11], 0 offen offset:896    // 000000007C10: E0701380 80025206
	s_mov_b64 exec, s[36:37]                                   // 000000007C18: BEFE0124
	v_mov_b32_e32 v6, v42                                      // 000000007C1C: 7E0C032A
	s_mov_b64 s[60:61], 0                                      // 000000007C20: BEBC0180
	v_readlane_b32 s82, v3, 6                                  // 000000007C24: D2890052 00010D03
	s_and_b32 s82, s82, 0xffffff                               // 000000007C2C: 8652FF52 00FFFFFF
	s_cmp_lt_u32 s82, s66                                      // 000000007C34: BF0A4252
	s_cselect_b32 s20, s36, s60                                // 000000007C38: 85143C24
	v_readlane_b32 s82, v3, 7                                  // 000000007C3C: D2890052 00010F03
	s_and_b32 s82, s82, 0xffffff                               // 000000007C44: 8652FF52 00FFFFFF
	s_cmp_lt_u32 s82, s66                                      // 000000007C4C: BF0A4252
	s_cselect_b32 s21, s36, s60                                // 000000007C50: 85153C24
	s_mov_b64 exec, s[20:21]                                   // 000000007C54: BEFE0114
	buffer_store_dword v69, v6, s[8:11], 0 offen               // 000000007C58: E0701000 80024506
	buffer_store_dword v71, v6, s[8:11], 0 offen offset:128    // 000000007C60: E0701080 80024706
	buffer_store_dword v73, v6, s[8:11], 0 offen offset:256    // 000000007C68: E0701100 80024906
	buffer_store_dword v75, v6, s[8:11], 0 offen offset:384    // 000000007C70: E0701180 80024B06
	buffer_store_dword v77, v6, s[8:11], 0 offen offset:512    // 000000007C78: E0701200 80024D06
	buffer_store_dword v79, v6, s[8:11], 0 offen offset:640    // 000000007C80: E0701280 80024F06
	buffer_store_dword v81, v6, s[8:11], 0 offen offset:768    // 000000007C88: E0701300 80025106
	buffer_store_dword v83, v6, s[8:11], 0 offen offset:896    // 000000007C90: E0701380 80025306
	s_mov_b64 exec, s[36:37]                                   // 000000007C98: BEFE0124
	s_branch label_2EE9                                        // 000000007C9C: BF821A3E

0000000000007ca0 <label_14A8>:
	ds_write_b64 v20, v[52:53]                                 // 000000007CA0: D89A0000 00003414
	ds_write_b64 v20, v[56:57] offset:17408                    // 000000007CA8: D89A4400 00003814
	ds_write_b64 v20, v[60:61] offset:2176                     // 000000007CB0: D89A0880 00003C14
	ds_write_b64 v20, v[64:65] offset:19584                    // 000000007CB8: D89A4C80 00004014
	ds_write_b64 v20, v[68:69] offset:4352                     // 000000007CC0: D89A1100 00004414
	ds_write_b64 v20, v[72:73] offset:21760                    // 000000007CC8: D89A5500 00004814
	ds_write_b64 v20, v[76:77] offset:6528                     // 000000007CD0: D89A1980 00004C14
	ds_write_b64 v20, v[80:81] offset:23936                    // 000000007CD8: D89A5D80 00005014
	ds_write_b64 v20, v[84:85] offset:8704                     // 000000007CE0: D89A2200 00005414
	ds_write_b64 v20, v[88:89] offset:26112                    // 000000007CE8: D89A6600 00005814
	ds_write_b64 v20, v[92:93] offset:10880                    // 000000007CF0: D89A2A80 00005C14
	ds_write_b64 v20, v[96:97] offset:28288                    // 000000007CF8: D89A6E80 00006014
	ds_write_b64 v20, v[100:101] offset:13056                  // 000000007D00: D89A3300 00006414
	ds_write_b64 v20, v[104:105] offset:30464                  // 000000007D08: D89A7700 00006814
	ds_write_b64 v20, v[108:109] offset:15232                  // 000000007D10: D89A3B80 00006C14
	ds_write_b64 v20, v[112:113] offset:32640                  // 000000007D18: D89A7F80 00007014
	v_lshrrev_b32_e32 v4, 5, v0                                // 000000007D20: 20080085
	v_xor_b32_e32 v5, 1, v4                                    // 000000007D24: 2A0A0881
	s_mul_i32 s60, s65, 2                                      // 000000007D28: 923C8241
	s_cmp_eq_u32 s88, 0                                        // 000000007D2C: BF068058
	s_cselect_b32 s61, 1, 4                                    // 000000007D30: 853D8481
	s_mul_i32 s60, s61, s60                                    // 000000007D34: 923C3C3D
	v_readlane_b32 s82, v3, 0                                  // 000000007D38: D2890052 00010103
	s_lshr_b32 s61, s82, 24                                    // 000000007D40: 8F3D9852
	s_and_b32 s82, s82, 0xffffff                               // 000000007D44: 8652FF52 00FFFFFF
	s_mul_i32 s82, s82, s71                                    // 000000007D4C: 92524752
	s_mul_i32 s61, s60, s61                                    // 000000007D50: 923D3D3C
	s_add_u32 s82, s82, s61                                    // 000000007D54: 80523D52
	v_mul_lo_u32 v6, v5, s82                                   // 000000007D58: D2850006 0000A505
	v_readlane_b32 s82, v3, 1                                  // 000000007D60: D2890052 00010303
	s_lshr_b32 s61, s82, 24                                    // 000000007D68: 8F3D9852
	s_and_b32 s82, s82, 0xffffff                               // 000000007D6C: 8652FF52 00FFFFFF
	s_mul_i32 s82, s82, s71                                    // 000000007D74: 92524752
	s_mul_i32 s61, s60, s61                                    // 000000007D78: 923D3D3C
	s_add_u32 s82, s82, s61                                    // 000000007D7C: 80523D52
	v_mul_lo_u32 v7, v4, s82                                   // 000000007D80: D2850007 0000A504
	v_add_u32_e32 v39, v6, v7                                  // 000000007D88: 684E0F06
	v_readlane_b32 s82, v3, 2                                  // 000000007D8C: D2890052 00010503
	s_lshr_b32 s61, s82, 24                                    // 000000007D94: 8F3D9852
	s_and_b32 s82, s82, 0xffffff                               // 000000007D98: 8652FF52 00FFFFFF
	s_mul_i32 s82, s82, s71                                    // 000000007DA0: 92524752
	s_mul_i32 s61, s60, s61                                    // 000000007DA4: 923D3D3C
	s_add_u32 s82, s82, s61                                    // 000000007DA8: 80523D52
	v_mul_lo_u32 v6, v5, s82                                   // 000000007DAC: D2850006 0000A505
	v_readlane_b32 s82, v3, 3                                  // 000000007DB4: D2890052 00010703
	s_lshr_b32 s61, s82, 24                                    // 000000007DBC: 8F3D9852
	s_and_b32 s82, s82, 0xffffff                               // 000000007DC0: 8652FF52 00FFFFFF
	s_mul_i32 s82, s82, s71                                    // 000000007DC8: 92524752
	s_mul_i32 s61, s60, s61                                    // 000000007DCC: 923D3D3C
	s_add_u32 s82, s82, s61                                    // 000000007DD0: 80523D52
	v_mul_lo_u32 v7, v4, s82                                   // 000000007DD4: D2850007 0000A504
	v_add_u32_e32 v40, v6, v7                                  // 000000007DDC: 68500F06
	v_readlane_b32 s82, v3, 4                                  // 000000007DE0: D2890052 00010903
	s_lshr_b32 s61, s82, 24                                    // 000000007DE8: 8F3D9852
	s_and_b32 s82, s82, 0xffffff                               // 000000007DEC: 8652FF52 00FFFFFF
	s_mul_i32 s82, s82, s71                                    // 000000007DF4: 92524752
	s_mul_i32 s61, s60, s61                                    // 000000007DF8: 923D3D3C
	s_add_u32 s82, s82, s61                                    // 000000007DFC: 80523D52
	v_mul_lo_u32 v6, v5, s82                                   // 000000007E00: D2850006 0000A505
	v_readlane_b32 s82, v3, 5                                  // 000000007E08: D2890052 00010B03
	s_lshr_b32 s61, s82, 24                                    // 000000007E10: 8F3D9852
	s_and_b32 s82, s82, 0xffffff                               // 000000007E14: 8652FF52 00FFFFFF
	s_mul_i32 s82, s82, s71                                    // 000000007E1C: 92524752
	s_mul_i32 s61, s60, s61                                    // 000000007E20: 923D3D3C
	s_add_u32 s82, s82, s61                                    // 000000007E24: 80523D52
	v_mul_lo_u32 v7, v4, s82                                   // 000000007E28: D2850007 0000A504
	v_add_u32_e32 v41, v6, v7                                  // 000000007E30: 68520F06
	v_readlane_b32 s82, v3, 6                                  // 000000007E34: D2890052 00010D03
	s_lshr_b32 s61, s82, 24                                    // 000000007E3C: 8F3D9852
	s_and_b32 s82, s82, 0xffffff                               // 000000007E40: 8652FF52 00FFFFFF
	s_mul_i32 s82, s82, s71                                    // 000000007E48: 92524752
	s_mul_i32 s61, s60, s61                                    // 000000007E4C: 923D3D3C
	s_add_u32 s82, s82, s61                                    // 000000007E50: 80523D52
	v_mul_lo_u32 v6, v5, s82                                   // 000000007E54: D2850006 0000A505
	v_readlane_b32 s82, v3, 7                                  // 000000007E5C: D2890052 00010F03
	s_lshr_b32 s61, s82, 24                                    // 000000007E64: 8F3D9852
	s_and_b32 s82, s82, 0xffffff                               // 000000007E68: 8652FF52 00FFFFFF
	s_mul_i32 s82, s82, s71                                    // 000000007E70: 92524752
	s_mul_i32 s61, s60, s61                                    // 000000007E74: 923D3D3C
	s_add_u32 s82, s82, s61                                    // 000000007E78: 80523D52
	v_mul_lo_u32 v7, v4, s82                                   // 000000007E7C: D2850007 0000A504
	v_add_u32_e32 v42, v6, v7                                  // 000000007E84: 68540F06
	v_and_b32_e32 v4, 31, v0                                   // 000000007E88: 2608009F
	v_lshrrev_b32_e32 v4, 1, v4                                // 000000007E8C: 20080881
	s_cmp_eq_u32 s88, 0                                        // 000000007E90: BF068058
	s_cselect_b32 s61, 2, 4                                    // 000000007E94: 853D8482
	v_mul_lo_u32 v4, v4, s61                                   // 000000007E98: D2850004 00007B04
	v_and_b32_e64 v5, v0, 1                                    // 000000007EA0: D1130005 00010300
	v_add_u32_e32 v4, v4, v5                                   // 000000007EA8: 68080B04
	v_lshlrev_b32_e32 v4, 2, v4                                // 000000007EAC: 24080882
	v_add_u32_e32 v39, v39, v4                                 // 000000007EB0: 684E0927
	v_add_u32_e32 v40, v40, v4                                 // 000000007EB4: 68500928
	v_add_u32_e32 v41, v41, v4                                 // 000000007EB8: 68520929
	v_add_u32_e32 v42, v42, v4                                 // 000000007EBC: 6854092A
	s_waitcnt lgkmcnt(0)                                       // 000000007EC0: BF8CC07F
	s_barrier                                                  // 000000007EC4: BF8A0000
	ds_read_b32 v52, v21                                       // 000000007EC8: D86C0000 34000015
	ds_read_b32 v53, v21 offset:64                             // 000000007ED0: D86C0040 35000015
	ds_read_b32 v56, v21 offset:2176                           // 000000007ED8: D86C0880 38000015
	ds_read_b32 v57, v21 offset:2240                           // 000000007EE0: D86C08C0 39000015
	ds_read_b32 v60, v21 offset:4352                           // 000000007EE8: D86C1100 3C000015
	ds_read_b32 v61, v21 offset:4416                           // 000000007EF0: D86C1140 3D000015
	ds_read_b32 v64, v21 offset:6528                           // 000000007EF8: D86C1980 40000015
	ds_read_b32 v65, v21 offset:6592                           // 000000007F00: D86C19C0 41000015
	ds_read_b32 v68, v21 offset:8704                           // 000000007F08: D86C2200 44000015
	ds_read_b32 v69, v21 offset:8768                           // 000000007F10: D86C2240 45000015
	ds_read_b32 v72, v21 offset:10880                          // 000000007F18: D86C2A80 48000015
	ds_read_b32 v73, v21 offset:10944                          // 000000007F20: D86C2AC0 49000015
	ds_read_b32 v76, v21 offset:13056                          // 000000007F28: D86C3300 4C000015
	ds_read_b32 v77, v21 offset:13120                          // 000000007F30: D86C3340 4D000015
	ds_read_b32 v80, v21 offset:15232                          // 000000007F38: D86C3B80 50000015
	ds_read_b32 v81, v21 offset:15296                          // 000000007F40: D86C3BC0 51000015
	ds_read_b32 v84, v21 offset:17408                          // 000000007F48: D86C4400 54000015
	ds_read_b32 v85, v21 offset:17472                          // 000000007F50: D86C4440 55000015
	ds_read_b32 v88, v21 offset:19584                          // 000000007F58: D86C4C80 58000015
	ds_read_b32 v89, v21 offset:19648                          // 000000007F60: D86C4CC0 59000015
	ds_read_b32 v92, v21 offset:21760                          // 000000007F68: D86C5500 5C000015
	ds_read_b32 v93, v21 offset:21824                          // 000000007F70: D86C5540 5D000015
	ds_read_b32 v96, v21 offset:23936                          // 000000007F78: D86C5D80 60000015
	ds_read_b32 v97, v21 offset:24000                          // 000000007F80: D86C5DC0 61000015
	ds_read_b32 v100, v21 offset:26112                         // 000000007F88: D86C6600 64000015
	ds_read_b32 v101, v21 offset:26176                         // 000000007F90: D86C6640 65000015
	ds_read_b32 v104, v21 offset:28288                         // 000000007F98: D86C6E80 68000015
	ds_read_b32 v105, v21 offset:28352                         // 000000007FA0: D86C6EC0 69000015
	ds_read_b32 v108, v21 offset:30464                         // 000000007FA8: D86C7700 6C000015
	ds_read_b32 v109, v21 offset:30528                         // 000000007FB0: D86C7740 6D000015
	ds_read_b32 v112, v21 offset:32640                         // 000000007FB8: D86C7F80 70000015
	ds_read_b32 v113, v21 offset:32704                         // 000000007FC0: D86C7FC0 71000015
	s_waitcnt lgkmcnt(0)                                       // 000000007FC8: BF8CC07F
	s_mov_b32 s36, -1                                          // 000000007FCC: BEA400C1
	s_mov_b32 s37, -1                                          // 000000007FD0: BEA500C1
	v_mov_b32_e32 v7, 0                                        // 000000007FD4: 7E0E0280
	s_mov_b64 exec, s[36:37]                                   // 000000007FD8: BEFE0124
	v_mov_b32_e32 v6, v39                                      // 000000007FDC: 7E0C0327
	s_mov_b64 s[60:61], 0                                      // 000000007FE0: BEBC0180
	v_readlane_b32 s82, v3, 0                                  // 000000007FE4: D2890052 00010103
	s_and_b32 s82, s82, 0xffffff                               // 000000007FEC: 8652FF52 00FFFFFF
	s_cmp_lt_u32 s82, s66                                      // 000000007FF4: BF0A4252
	s_cselect_b32 s20, s36, s60                                // 000000007FF8: 85143C24
	v_readlane_b32 s82, v3, 1                                  // 000000007FFC: D2890052 00010303
	s_and_b32 s82, s82, 0xffffff                               // 000000008004: 8652FF52 00FFFFFF
	s_cmp_lt_u32 s82, s66                                      // 00000000800C: BF0A4252
	s_cselect_b32 s21, s36, s60                                // 000000008010: 85153C24
	s_mov_b64 exec, s[20:21]                                   // 000000008014: BEFE0114
	global_atomic_add_f32 v6, v52, s[8:9]                      // 000000008018: DD348000 00083406
	global_atomic_add_f32 v6, v56, s[8:9] offset:256           // 000000008020: DD348100 00083806
	global_atomic_add_f32 v6, v60, s[8:9] offset:512           // 000000008028: DD348200 00083C06
	global_atomic_add_f32 v6, v64, s[8:9] offset:768           // 000000008030: DD348300 00084006
	global_atomic_add_f32 v6, v68, s[8:9] offset:1024          // 000000008038: DD348400 00084406
	global_atomic_add_f32 v6, v72, s[8:9] offset:1280          // 000000008040: DD348500 00084806
	global_atomic_add_f32 v6, v76, s[8:9] offset:1536          // 000000008048: DD348600 00084C06
	global_atomic_add_f32 v6, v80, s[8:9] offset:1792          // 000000008050: DD348700 00085006
	s_mov_b64 exec, s[36:37]                                   // 000000008058: BEFE0124
	v_mov_b32_e32 v6, v40                                      // 00000000805C: 7E0C0328
	s_mov_b64 s[60:61], 0                                      // 000000008060: BEBC0180
	v_readlane_b32 s82, v3, 2                                  // 000000008064: D2890052 00010503
	s_and_b32 s82, s82, 0xffffff                               // 00000000806C: 8652FF52 00FFFFFF
	s_cmp_lt_u32 s82, s66                                      // 000000008074: BF0A4252
	s_cselect_b32 s20, s36, s60                                // 000000008078: 85143C24
	v_readlane_b32 s82, v3, 3                                  // 00000000807C: D2890052 00010703
	s_and_b32 s82, s82, 0xffffff                               // 000000008084: 8652FF52 00FFFFFF
	s_cmp_lt_u32 s82, s66                                      // 00000000808C: BF0A4252
	s_cselect_b32 s21, s36, s60                                // 000000008090: 85153C24
	s_mov_b64 exec, s[20:21]                                   // 000000008094: BEFE0114
	global_atomic_add_f32 v6, v53, s[8:9]                      // 000000008098: DD348000 00083506
	global_atomic_add_f32 v6, v57, s[8:9] offset:256           // 0000000080A0: DD348100 00083906
	global_atomic_add_f32 v6, v61, s[8:9] offset:512           // 0000000080A8: DD348200 00083D06
	global_atomic_add_f32 v6, v65, s[8:9] offset:768           // 0000000080B0: DD348300 00084106
	global_atomic_add_f32 v6, v69, s[8:9] offset:1024          // 0000000080B8: DD348400 00084506
	global_atomic_add_f32 v6, v73, s[8:9] offset:1280          // 0000000080C0: DD348500 00084906
	global_atomic_add_f32 v6, v77, s[8:9] offset:1536          // 0000000080C8: DD348600 00084D06
	global_atomic_add_f32 v6, v81, s[8:9] offset:1792          // 0000000080D0: DD348700 00085106
	s_mov_b64 exec, s[36:37]                                   // 0000000080D8: BEFE0124
	v_mov_b32_e32 v6, v41                                      // 0000000080DC: 7E0C0329
	s_mov_b64 s[60:61], 0                                      // 0000000080E0: BEBC0180
	v_readlane_b32 s82, v3, 4                                  // 0000000080E4: D2890052 00010903
	s_and_b32 s82, s82, 0xffffff                               // 0000000080EC: 8652FF52 00FFFFFF
	s_cmp_lt_u32 s82, s66                                      // 0000000080F4: BF0A4252
	s_cselect_b32 s20, s36, s60                                // 0000000080F8: 85143C24
	v_readlane_b32 s82, v3, 5                                  // 0000000080FC: D2890052 00010B03
	s_and_b32 s82, s82, 0xffffff                               // 000000008104: 8652FF52 00FFFFFF
	s_cmp_lt_u32 s82, s66                                      // 00000000810C: BF0A4252
	s_cselect_b32 s21, s36, s60                                // 000000008110: 85153C24
	s_mov_b64 exec, s[20:21]                                   // 000000008114: BEFE0114
	global_atomic_add_f32 v6, v84, s[8:9]                      // 000000008118: DD348000 00085406
	global_atomic_add_f32 v6, v88, s[8:9] offset:256           // 000000008120: DD348100 00085806
	global_atomic_add_f32 v6, v92, s[8:9] offset:512           // 000000008128: DD348200 00085C06
	global_atomic_add_f32 v6, v96, s[8:9] offset:768           // 000000008130: DD348300 00086006
	global_atomic_add_f32 v6, v100, s[8:9] offset:1024         // 000000008138: DD348400 00086406
	global_atomic_add_f32 v6, v104, s[8:9] offset:1280         // 000000008140: DD348500 00086806
	global_atomic_add_f32 v6, v108, s[8:9] offset:1536         // 000000008148: DD348600 00086C06
	global_atomic_add_f32 v6, v112, s[8:9] offset:1792         // 000000008150: DD348700 00087006
	s_mov_b64 exec, s[36:37]                                   // 000000008158: BEFE0124
	v_mov_b32_e32 v6, v42                                      // 00000000815C: 7E0C032A
	s_mov_b64 s[60:61], 0                                      // 000000008160: BEBC0180
	v_readlane_b32 s82, v3, 6                                  // 000000008164: D2890052 00010D03
	s_and_b32 s82, s82, 0xffffff                               // 00000000816C: 8652FF52 00FFFFFF
	s_cmp_lt_u32 s82, s66                                      // 000000008174: BF0A4252
	s_cselect_b32 s20, s36, s60                                // 000000008178: 85143C24
	v_readlane_b32 s82, v3, 7                                  // 00000000817C: D2890052 00010F03
	s_and_b32 s82, s82, 0xffffff                               // 000000008184: 8652FF52 00FFFFFF
	s_cmp_lt_u32 s82, s66                                      // 00000000818C: BF0A4252
	s_cselect_b32 s21, s36, s60                                // 000000008190: 85153C24
	s_mov_b64 exec, s[20:21]                                   // 000000008194: BEFE0114
	global_atomic_add_f32 v6, v85, s[8:9]                      // 000000008198: DD348000 00085506
	global_atomic_add_f32 v6, v89, s[8:9] offset:256           // 0000000081A0: DD348100 00085906
	global_atomic_add_f32 v6, v93, s[8:9] offset:512           // 0000000081A8: DD348200 00085D06
	global_atomic_add_f32 v6, v97, s[8:9] offset:768           // 0000000081B0: DD348300 00086106
	global_atomic_add_f32 v6, v101, s[8:9] offset:1024         // 0000000081B8: DD348400 00086506
	global_atomic_add_f32 v6, v105, s[8:9] offset:1280         // 0000000081C0: DD348500 00086906
	global_atomic_add_f32 v6, v109, s[8:9] offset:1536         // 0000000081C8: DD348600 00086D06
	global_atomic_add_f32 v6, v113, s[8:9] offset:1792         // 0000000081D0: DD348700 00087106
	s_mov_b64 exec, s[36:37]                                   // 0000000081D8: BEFE0124
	ds_write_b64 v20, v[54:55]                                 // 0000000081DC: D89A0000 00003614
	ds_write_b64 v20, v[58:59] offset:17408                    // 0000000081E4: D89A4400 00003A14
	ds_write_b64 v20, v[62:63] offset:2176                     // 0000000081EC: D89A0880 00003E14
	ds_write_b64 v20, v[66:67] offset:19584                    // 0000000081F4: D89A4C80 00004214
	ds_write_b64 v20, v[70:71] offset:4352                     // 0000000081FC: D89A1100 00004614
	ds_write_b64 v20, v[74:75] offset:21760                    // 000000008204: D89A5500 00004A14
	ds_write_b64 v20, v[78:79] offset:6528                     // 00000000820C: D89A1980 00004E14
	ds_write_b64 v20, v[82:83] offset:23936                    // 000000008214: D89A5D80 00005214
	ds_write_b64 v20, v[86:87] offset:8704                     // 00000000821C: D89A2200 00005614
	ds_write_b64 v20, v[90:91] offset:26112                    // 000000008224: D89A6600 00005A14
	ds_write_b64 v20, v[94:95] offset:10880                    // 00000000822C: D89A2A80 00005E14
	ds_write_b64 v20, v[98:99] offset:28288                    // 000000008234: D89A6E80 00006214
	ds_write_b64 v20, v[102:103] offset:13056                  // 00000000823C: D89A3300 00006614
	ds_write_b64 v20, v[106:107] offset:30464                  // 000000008244: D89A7700 00006A14
	ds_write_b64 v20, v[110:111] offset:15232                  // 00000000824C: D89A3B80 00006E14
	ds_write_b64 v20, v[114:115] offset:32640                  // 000000008254: D89A7F80 00007214
	s_waitcnt lgkmcnt(0)                                       // 00000000825C: BF8CC07F
	s_barrier                                                  // 000000008260: BF8A0000
	ds_read_b32 v54, v21                                       // 000000008264: D86C0000 36000015
	ds_read_b32 v55, v21 offset:64                             // 00000000826C: D86C0040 37000015
	ds_read_b32 v58, v21 offset:2176                           // 000000008274: D86C0880 3A000015
	ds_read_b32 v59, v21 offset:2240                           // 00000000827C: D86C08C0 3B000015
	ds_read_b32 v62, v21 offset:4352                           // 000000008284: D86C1100 3E000015
	ds_read_b32 v63, v21 offset:4416                           // 00000000828C: D86C1140 3F000015
	ds_read_b32 v66, v21 offset:6528                           // 000000008294: D86C1980 42000015
	ds_read_b32 v67, v21 offset:6592                           // 00000000829C: D86C19C0 43000015
	ds_read_b32 v70, v21 offset:8704                           // 0000000082A4: D86C2200 46000015
	ds_read_b32 v71, v21 offset:8768                           // 0000000082AC: D86C2240 47000015
	ds_read_b32 v74, v21 offset:10880                          // 0000000082B4: D86C2A80 4A000015
	ds_read_b32 v75, v21 offset:10944                          // 0000000082BC: D86C2AC0 4B000015
	ds_read_b32 v78, v21 offset:13056                          // 0000000082C4: D86C3300 4E000015
	ds_read_b32 v79, v21 offset:13120                          // 0000000082CC: D86C3340 4F000015
	ds_read_b32 v82, v21 offset:15232                          // 0000000082D4: D86C3B80 52000015
	ds_read_b32 v83, v21 offset:15296                          // 0000000082DC: D86C3BC0 53000015
	ds_read_b32 v86, v21 offset:17408                          // 0000000082E4: D86C4400 56000015
	ds_read_b32 v87, v21 offset:17472                          // 0000000082EC: D86C4440 57000015
	ds_read_b32 v90, v21 offset:19584                          // 0000000082F4: D86C4C80 5A000015
	ds_read_b32 v91, v21 offset:19648                          // 0000000082FC: D86C4CC0 5B000015
	ds_read_b32 v94, v21 offset:21760                          // 000000008304: D86C5500 5E000015
	ds_read_b32 v95, v21 offset:21824                          // 00000000830C: D86C5540 5F000015
	ds_read_b32 v98, v21 offset:23936                          // 000000008314: D86C5D80 62000015
	ds_read_b32 v99, v21 offset:24000                          // 00000000831C: D86C5DC0 63000015
	ds_read_b32 v102, v21 offset:26112                         // 000000008324: D86C6600 66000015
	ds_read_b32 v103, v21 offset:26176                         // 00000000832C: D86C6640 67000015
	ds_read_b32 v106, v21 offset:28288                         // 000000008334: D86C6E80 6A000015
	ds_read_b32 v107, v21 offset:28352                         // 00000000833C: D86C6EC0 6B000015
	ds_read_b32 v110, v21 offset:30464                         // 000000008344: D86C7700 6E000015
	ds_read_b32 v111, v21 offset:30528                         // 00000000834C: D86C7740 6F000015
	ds_read_b32 v114, v21 offset:32640                         // 000000008354: D86C7F80 72000015
	ds_read_b32 v115, v21 offset:32704                         // 00000000835C: D86C7FC0 73000015
	s_waitcnt lgkmcnt(0)                                       // 000000008364: BF8CC07F
	v_mov_b32_e32 v7, 0                                        // 000000008368: 7E0E0280
	s_mov_b64 exec, s[36:37]                                   // 00000000836C: BEFE0124
	v_mov_b32_e32 v6, v39                                      // 000000008370: 7E0C0327
	s_mov_b64 s[60:61], 0                                      // 000000008374: BEBC0180
	v_readlane_b32 s82, v3, 0                                  // 000000008378: D2890052 00010103
	s_and_b32 s82, s82, 0xffffff                               // 000000008380: 8652FF52 00FFFFFF
	s_cmp_lt_u32 s82, s66                                      // 000000008388: BF0A4252
	s_cselect_b32 s20, s36, s60                                // 00000000838C: 85143C24
	v_readlane_b32 s82, v3, 1                                  // 000000008390: D2890052 00010303
	s_and_b32 s82, s82, 0xffffff                               // 000000008398: 8652FF52 00FFFFFF
	s_cmp_lt_u32 s82, s66                                      // 0000000083A0: BF0A4252
	s_cselect_b32 s21, s36, s60                                // 0000000083A4: 85153C24
	s_mov_b64 exec, s[20:21]                                   // 0000000083A8: BEFE0114
	global_atomic_add_f32 v6, v54, s[8:9] offset:8             // 0000000083AC: DD348008 00083606
	global_atomic_add_f32 v6, v58, s[8:9] offset:264           // 0000000083B4: DD348108 00083A06
	global_atomic_add_f32 v6, v62, s[8:9] offset:520           // 0000000083BC: DD348208 00083E06
	global_atomic_add_f32 v6, v66, s[8:9] offset:776           // 0000000083C4: DD348308 00084206
	global_atomic_add_f32 v6, v70, s[8:9] offset:1032          // 0000000083CC: DD348408 00084606
	global_atomic_add_f32 v6, v74, s[8:9] offset:1288          // 0000000083D4: DD348508 00084A06
	global_atomic_add_f32 v6, v78, s[8:9] offset:1544          // 0000000083DC: DD348608 00084E06
	global_atomic_add_f32 v6, v82, s[8:9] offset:1800          // 0000000083E4: DD348708 00085206
	s_mov_b64 exec, s[36:37]                                   // 0000000083EC: BEFE0124
	v_mov_b32_e32 v6, v40                                      // 0000000083F0: 7E0C0328
	s_mov_b64 s[60:61], 0                                      // 0000000083F4: BEBC0180
	v_readlane_b32 s82, v3, 2                                  // 0000000083F8: D2890052 00010503
	s_and_b32 s82, s82, 0xffffff                               // 000000008400: 8652FF52 00FFFFFF
	s_cmp_lt_u32 s82, s66                                      // 000000008408: BF0A4252
	s_cselect_b32 s20, s36, s60                                // 00000000840C: 85143C24
	v_readlane_b32 s82, v3, 3                                  // 000000008410: D2890052 00010703
	s_and_b32 s82, s82, 0xffffff                               // 000000008418: 8652FF52 00FFFFFF
	s_cmp_lt_u32 s82, s66                                      // 000000008420: BF0A4252
	s_cselect_b32 s21, s36, s60                                // 000000008424: 85153C24
	s_mov_b64 exec, s[20:21]                                   // 000000008428: BEFE0114
	global_atomic_add_f32 v6, v55, s[8:9] offset:8             // 00000000842C: DD348008 00083706
	global_atomic_add_f32 v6, v59, s[8:9] offset:264           // 000000008434: DD348108 00083B06
	global_atomic_add_f32 v6, v63, s[8:9] offset:520           // 00000000843C: DD348208 00083F06
	global_atomic_add_f32 v6, v67, s[8:9] offset:776           // 000000008444: DD348308 00084306
	global_atomic_add_f32 v6, v71, s[8:9] offset:1032          // 00000000844C: DD348408 00084706
	global_atomic_add_f32 v6, v75, s[8:9] offset:1288          // 000000008454: DD348508 00084B06
	global_atomic_add_f32 v6, v79, s[8:9] offset:1544          // 00000000845C: DD348608 00084F06
	global_atomic_add_f32 v6, v83, s[8:9] offset:1800          // 000000008464: DD348708 00085306
	s_mov_b64 exec, s[36:37]                                   // 00000000846C: BEFE0124
	v_mov_b32_e32 v6, v41                                      // 000000008470: 7E0C0329
	s_mov_b64 s[60:61], 0                                      // 000000008474: BEBC0180
	v_readlane_b32 s82, v3, 4                                  // 000000008478: D2890052 00010903
	s_and_b32 s82, s82, 0xffffff                               // 000000008480: 8652FF52 00FFFFFF
	s_cmp_lt_u32 s82, s66                                      // 000000008488: BF0A4252
	s_cselect_b32 s20, s36, s60                                // 00000000848C: 85143C24
	v_readlane_b32 s82, v3, 5                                  // 000000008490: D2890052 00010B03
	s_and_b32 s82, s82, 0xffffff                               // 000000008498: 8652FF52 00FFFFFF
	s_cmp_lt_u32 s82, s66                                      // 0000000084A0: BF0A4252
	s_cselect_b32 s21, s36, s60                                // 0000000084A4: 85153C24
	s_mov_b64 exec, s[20:21]                                   // 0000000084A8: BEFE0114
	global_atomic_add_f32 v6, v86, s[8:9] offset:8             // 0000000084AC: DD348008 00085606
	global_atomic_add_f32 v6, v90, s[8:9] offset:264           // 0000000084B4: DD348108 00085A06
	global_atomic_add_f32 v6, v94, s[8:9] offset:520           // 0000000084BC: DD348208 00085E06
	global_atomic_add_f32 v6, v98, s[8:9] offset:776           // 0000000084C4: DD348308 00086206
	global_atomic_add_f32 v6, v102, s[8:9] offset:1032         // 0000000084CC: DD348408 00086606
	global_atomic_add_f32 v6, v106, s[8:9] offset:1288         // 0000000084D4: DD348508 00086A06
	global_atomic_add_f32 v6, v110, s[8:9] offset:1544         // 0000000084DC: DD348608 00086E06
	global_atomic_add_f32 v6, v114, s[8:9] offset:1800         // 0000000084E4: DD348708 00087206
	s_mov_b64 exec, s[36:37]                                   // 0000000084EC: BEFE0124
	v_mov_b32_e32 v6, v42                                      // 0000000084F0: 7E0C032A
	s_mov_b64 s[60:61], 0                                      // 0000000084F4: BEBC0180
	v_readlane_b32 s82, v3, 6                                  // 0000000084F8: D2890052 00010D03
	s_and_b32 s82, s82, 0xffffff                               // 000000008500: 8652FF52 00FFFFFF
	s_cmp_lt_u32 s82, s66                                      // 000000008508: BF0A4252
	s_cselect_b32 s20, s36, s60                                // 00000000850C: 85143C24
	v_readlane_b32 s82, v3, 7                                  // 000000008510: D2890052 00010F03
	s_and_b32 s82, s82, 0xffffff                               // 000000008518: 8652FF52 00FFFFFF
	s_cmp_lt_u32 s82, s66                                      // 000000008520: BF0A4252
	s_cselect_b32 s21, s36, s60                                // 000000008524: 85153C24
	s_mov_b64 exec, s[20:21]                                   // 000000008528: BEFE0114
	global_atomic_add_f32 v6, v87, s[8:9] offset:8             // 00000000852C: DD348008 00085706
	global_atomic_add_f32 v6, v91, s[8:9] offset:264           // 000000008534: DD348108 00085B06
	global_atomic_add_f32 v6, v95, s[8:9] offset:520           // 00000000853C: DD348208 00085F06
	global_atomic_add_f32 v6, v99, s[8:9] offset:776           // 000000008544: DD348308 00086306
	global_atomic_add_f32 v6, v103, s[8:9] offset:1032         // 00000000854C: DD348408 00086706
	global_atomic_add_f32 v6, v107, s[8:9] offset:1288         // 000000008554: DD348508 00086B06
	global_atomic_add_f32 v6, v111, s[8:9] offset:1544         // 00000000855C: DD348608 00086F06
	global_atomic_add_f32 v6, v115, s[8:9] offset:1800         // 000000008564: DD348708 00087306
	s_mov_b64 exec, s[36:37]                                   // 00000000856C: BEFE0124
	ds_write_b64 v20, v[116:117]                               // 000000008570: D89A0000 00007414
	ds_write_b64 v20, v[120:121] offset:17408                  // 000000008578: D89A4400 00007814
	ds_write_b64 v20, v[124:125] offset:2176                   // 000000008580: D89A0880 00007C14
	ds_write_b64 v20, v[128:129] offset:19584                  // 000000008588: D89A4C80 00008014
	ds_write_b64 v20, v[132:133] offset:4352                   // 000000008590: D89A1100 00008414
	ds_write_b64 v20, v[136:137] offset:21760                  // 000000008598: D89A5500 00008814
	ds_write_b64 v20, v[140:141] offset:6528                   // 0000000085A0: D89A1980 00008C14
	ds_write_b64 v20, v[144:145] offset:23936                  // 0000000085A8: D89A5D80 00009014
	ds_write_b64 v20, v[148:149] offset:8704                   // 0000000085B0: D89A2200 00009414
	ds_write_b64 v20, v[152:153] offset:26112                  // 0000000085B8: D89A6600 00009814
	ds_write_b64 v20, v[156:157] offset:10880                  // 0000000085C0: D89A2A80 00009C14
	ds_write_b64 v20, v[160:161] offset:28288                  // 0000000085C8: D89A6E80 0000A014
	ds_write_b64 v20, v[164:165] offset:13056                  // 0000000085D0: D89A3300 0000A414
	ds_write_b64 v20, v[168:169] offset:30464                  // 0000000085D8: D89A7700 0000A814
	ds_write_b64 v20, v[172:173] offset:15232                  // 0000000085E0: D89A3B80 0000AC14
	ds_write_b64 v20, v[176:177] offset:32640                  // 0000000085E8: D89A7F80 0000B014
	s_waitcnt lgkmcnt(0)                                       // 0000000085F0: BF8CC07F
	s_barrier                                                  // 0000000085F4: BF8A0000
	ds_read_b32 v116, v21                                      // 0000000085F8: D86C0000 74000015
	ds_read_b32 v117, v21 offset:64                            // 000000008600: D86C0040 75000015
	ds_read_b32 v120, v21 offset:2176                          // 000000008608: D86C0880 78000015
	ds_read_b32 v121, v21 offset:2240                          // 000000008610: D86C08C0 79000015
	ds_read_b32 v124, v21 offset:4352                          // 000000008618: D86C1100 7C000015
	ds_read_b32 v125, v21 offset:4416                          // 000000008620: D86C1140 7D000015
	ds_read_b32 v128, v21 offset:6528                          // 000000008628: D86C1980 80000015
	ds_read_b32 v129, v21 offset:6592                          // 000000008630: D86C19C0 81000015
	ds_read_b32 v132, v21 offset:8704                          // 000000008638: D86C2200 84000015
	ds_read_b32 v133, v21 offset:8768                          // 000000008640: D86C2240 85000015
	ds_read_b32 v136, v21 offset:10880                         // 000000008648: D86C2A80 88000015
	ds_read_b32 v137, v21 offset:10944                         // 000000008650: D86C2AC0 89000015
	ds_read_b32 v140, v21 offset:13056                         // 000000008658: D86C3300 8C000015
	ds_read_b32 v141, v21 offset:13120                         // 000000008660: D86C3340 8D000015
	ds_read_b32 v144, v21 offset:15232                         // 000000008668: D86C3B80 90000015
	ds_read_b32 v145, v21 offset:15296                         // 000000008670: D86C3BC0 91000015
	ds_read_b32 v148, v21 offset:17408                         // 000000008678: D86C4400 94000015
	ds_read_b32 v149, v21 offset:17472                         // 000000008680: D86C4440 95000015
	ds_read_b32 v152, v21 offset:19584                         // 000000008688: D86C4C80 98000015
	ds_read_b32 v153, v21 offset:19648                         // 000000008690: D86C4CC0 99000015
	ds_read_b32 v156, v21 offset:21760                         // 000000008698: D86C5500 9C000015
	ds_read_b32 v157, v21 offset:21824                         // 0000000086A0: D86C5540 9D000015
	ds_read_b32 v160, v21 offset:23936                         // 0000000086A8: D86C5D80 A0000015
	ds_read_b32 v161, v21 offset:24000                         // 0000000086B0: D86C5DC0 A1000015
	ds_read_b32 v164, v21 offset:26112                         // 0000000086B8: D86C6600 A4000015
	ds_read_b32 v165, v21 offset:26176                         // 0000000086C0: D86C6640 A5000015
	ds_read_b32 v168, v21 offset:28288                         // 0000000086C8: D86C6E80 A8000015
	ds_read_b32 v169, v21 offset:28352                         // 0000000086D0: D86C6EC0 A9000015
	ds_read_b32 v172, v21 offset:30464                         // 0000000086D8: D86C7700 AC000015
	ds_read_b32 v173, v21 offset:30528                         // 0000000086E0: D86C7740 AD000015
	ds_read_b32 v176, v21 offset:32640                         // 0000000086E8: D86C7F80 B0000015
	ds_read_b32 v177, v21 offset:32704                         // 0000000086F0: D86C7FC0 B1000015
	s_mul_i32 s60, s65, 4                                      // 0000000086F8: 923C8441
	s_add_u32 s8, s60, s8                                      // 0000000086FC: 8008083C
	s_addc_u32 s9, 0, s9                                       // 000000008700: 82090980
	s_waitcnt lgkmcnt(0)                                       // 000000008704: BF8CC07F
	v_mov_b32_e32 v7, 0                                        // 000000008708: 7E0E0280
	s_mov_b64 exec, s[36:37]                                   // 00000000870C: BEFE0124
	v_mov_b32_e32 v6, v39                                      // 000000008710: 7E0C0327
	s_mov_b64 s[60:61], 0                                      // 000000008714: BEBC0180
	v_readlane_b32 s82, v3, 0                                  // 000000008718: D2890052 00010103
	s_and_b32 s82, s82, 0xffffff                               // 000000008720: 8652FF52 00FFFFFF
	s_cmp_lt_u32 s82, s66                                      // 000000008728: BF0A4252
	s_cselect_b32 s20, s36, s60                                // 00000000872C: 85143C24
	v_readlane_b32 s82, v3, 1                                  // 000000008730: D2890052 00010303
	s_and_b32 s82, s82, 0xffffff                               // 000000008738: 8652FF52 00FFFFFF
	s_cmp_lt_u32 s82, s66                                      // 000000008740: BF0A4252
	s_cselect_b32 s21, s36, s60                                // 000000008744: 85153C24
	s_mov_b64 exec, s[20:21]                                   // 000000008748: BEFE0114
	global_atomic_add_f32 v6, v116, s[8:9]                     // 00000000874C: DD348000 00087406
	global_atomic_add_f32 v6, v120, s[8:9] offset:256          // 000000008754: DD348100 00087806
	global_atomic_add_f32 v6, v124, s[8:9] offset:512          // 00000000875C: DD348200 00087C06
	global_atomic_add_f32 v6, v128, s[8:9] offset:768          // 000000008764: DD348300 00088006
	global_atomic_add_f32 v6, v132, s[8:9] offset:1024         // 00000000876C: DD348400 00088406
	global_atomic_add_f32 v6, v136, s[8:9] offset:1280         // 000000008774: DD348500 00088806
	global_atomic_add_f32 v6, v140, s[8:9] offset:1536         // 00000000877C: DD348600 00088C06
	global_atomic_add_f32 v6, v144, s[8:9] offset:1792         // 000000008784: DD348700 00089006
	s_mov_b64 exec, s[36:37]                                   // 00000000878C: BEFE0124
	v_mov_b32_e32 v6, v40                                      // 000000008790: 7E0C0328
	s_mov_b64 s[60:61], 0                                      // 000000008794: BEBC0180
	v_readlane_b32 s82, v3, 2                                  // 000000008798: D2890052 00010503
	s_and_b32 s82, s82, 0xffffff                               // 0000000087A0: 8652FF52 00FFFFFF
	s_cmp_lt_u32 s82, s66                                      // 0000000087A8: BF0A4252
	s_cselect_b32 s20, s36, s60                                // 0000000087AC: 85143C24
	v_readlane_b32 s82, v3, 3                                  // 0000000087B0: D2890052 00010703
	s_and_b32 s82, s82, 0xffffff                               // 0000000087B8: 8652FF52 00FFFFFF
	s_cmp_lt_u32 s82, s66                                      // 0000000087C0: BF0A4252
	s_cselect_b32 s21, s36, s60                                // 0000000087C4: 85153C24
	s_mov_b64 exec, s[20:21]                                   // 0000000087C8: BEFE0114
	global_atomic_add_f32 v6, v117, s[8:9]                     // 0000000087CC: DD348000 00087506
	global_atomic_add_f32 v6, v121, s[8:9] offset:256          // 0000000087D4: DD348100 00087906
	global_atomic_add_f32 v6, v125, s[8:9] offset:512          // 0000000087DC: DD348200 00087D06
	global_atomic_add_f32 v6, v129, s[8:9] offset:768          // 0000000087E4: DD348300 00088106
	global_atomic_add_f32 v6, v133, s[8:9] offset:1024         // 0000000087EC: DD348400 00088506
	global_atomic_add_f32 v6, v137, s[8:9] offset:1280         // 0000000087F4: DD348500 00088906
	global_atomic_add_f32 v6, v141, s[8:9] offset:1536         // 0000000087FC: DD348600 00088D06
	global_atomic_add_f32 v6, v145, s[8:9] offset:1792         // 000000008804: DD348700 00089106
	s_mov_b64 exec, s[36:37]                                   // 00000000880C: BEFE0124
	v_mov_b32_e32 v6, v41                                      // 000000008810: 7E0C0329
	s_mov_b64 s[60:61], 0                                      // 000000008814: BEBC0180
	v_readlane_b32 s82, v3, 4                                  // 000000008818: D2890052 00010903
	s_and_b32 s82, s82, 0xffffff                               // 000000008820: 8652FF52 00FFFFFF
	s_cmp_lt_u32 s82, s66                                      // 000000008828: BF0A4252
	s_cselect_b32 s20, s36, s60                                // 00000000882C: 85143C24
	v_readlane_b32 s82, v3, 5                                  // 000000008830: D2890052 00010B03
	s_and_b32 s82, s82, 0xffffff                               // 000000008838: 8652FF52 00FFFFFF
	s_cmp_lt_u32 s82, s66                                      // 000000008840: BF0A4252
	s_cselect_b32 s21, s36, s60                                // 000000008844: 85153C24
	s_mov_b64 exec, s[20:21]                                   // 000000008848: BEFE0114
	global_atomic_add_f32 v6, v148, s[8:9]                     // 00000000884C: DD348000 00089406
	global_atomic_add_f32 v6, v152, s[8:9] offset:256          // 000000008854: DD348100 00089806
	global_atomic_add_f32 v6, v156, s[8:9] offset:512          // 00000000885C: DD348200 00089C06
	global_atomic_add_f32 v6, v160, s[8:9] offset:768          // 000000008864: DD348300 0008A006
	global_atomic_add_f32 v6, v164, s[8:9] offset:1024         // 00000000886C: DD348400 0008A406
	global_atomic_add_f32 v6, v168, s[8:9] offset:1280         // 000000008874: DD348500 0008A806
	global_atomic_add_f32 v6, v172, s[8:9] offset:1536         // 00000000887C: DD348600 0008AC06
	global_atomic_add_f32 v6, v176, s[8:9] offset:1792         // 000000008884: DD348700 0008B006
	s_mov_b64 exec, s[36:37]                                   // 00000000888C: BEFE0124
	v_mov_b32_e32 v6, v42                                      // 000000008890: 7E0C032A
	s_mov_b64 s[60:61], 0                                      // 000000008894: BEBC0180
	v_readlane_b32 s82, v3, 6                                  // 000000008898: D2890052 00010D03
	s_and_b32 s82, s82, 0xffffff                               // 0000000088A0: 8652FF52 00FFFFFF
	s_cmp_lt_u32 s82, s66                                      // 0000000088A8: BF0A4252
	s_cselect_b32 s20, s36, s60                                // 0000000088AC: 85143C24
	v_readlane_b32 s82, v3, 7                                  // 0000000088B0: D2890052 00010F03
	s_and_b32 s82, s82, 0xffffff                               // 0000000088B8: 8652FF52 00FFFFFF
	s_cmp_lt_u32 s82, s66                                      // 0000000088C0: BF0A4252
	s_cselect_b32 s21, s36, s60                                // 0000000088C4: 85153C24
	s_mov_b64 exec, s[20:21]                                   // 0000000088C8: BEFE0114
	global_atomic_add_f32 v6, v149, s[8:9]                     // 0000000088CC: DD348000 00089506
	global_atomic_add_f32 v6, v153, s[8:9] offset:256          // 0000000088D4: DD348100 00089906
	global_atomic_add_f32 v6, v157, s[8:9] offset:512          // 0000000088DC: DD348200 00089D06
	global_atomic_add_f32 v6, v161, s[8:9] offset:768          // 0000000088E4: DD348300 0008A106
	global_atomic_add_f32 v6, v165, s[8:9] offset:1024         // 0000000088EC: DD348400 0008A506
	global_atomic_add_f32 v6, v169, s[8:9] offset:1280         // 0000000088F4: DD348500 0008A906
	global_atomic_add_f32 v6, v173, s[8:9] offset:1536         // 0000000088FC: DD348600 0008AD06
	global_atomic_add_f32 v6, v177, s[8:9] offset:1792         // 000000008904: DD348700 0008B106
	s_mov_b64 exec, s[36:37]                                   // 00000000890C: BEFE0124
	ds_write_b64 v20, v[118:119]                               // 000000008910: D89A0000 00007614
	ds_write_b64 v20, v[122:123] offset:17408                  // 000000008918: D89A4400 00007A14
	ds_write_b64 v20, v[126:127] offset:2176                   // 000000008920: D89A0880 00007E14
	ds_write_b64 v20, v[130:131] offset:19584                  // 000000008928: D89A4C80 00008214
	ds_write_b64 v20, v[134:135] offset:4352                   // 000000008930: D89A1100 00008614
	ds_write_b64 v20, v[138:139] offset:21760                  // 000000008938: D89A5500 00008A14
	ds_write_b64 v20, v[142:143] offset:6528                   // 000000008940: D89A1980 00008E14
	ds_write_b64 v20, v[146:147] offset:23936                  // 000000008948: D89A5D80 00009214
	ds_write_b64 v20, v[150:151] offset:8704                   // 000000008950: D89A2200 00009614
	ds_write_b64 v20, v[154:155] offset:26112                  // 000000008958: D89A6600 00009A14
	ds_write_b64 v20, v[158:159] offset:10880                  // 000000008960: D89A2A80 00009E14
	ds_write_b64 v20, v[162:163] offset:28288                  // 000000008968: D89A6E80 0000A214
	ds_write_b64 v20, v[166:167] offset:13056                  // 000000008970: D89A3300 0000A614
	ds_write_b64 v20, v[170:171] offset:30464                  // 000000008978: D89A7700 0000AA14
	ds_write_b64 v20, v[174:175] offset:15232                  // 000000008980: D89A3B80 0000AE14
	ds_write_b64 v20, v[178:179] offset:32640                  // 000000008988: D89A7F80 0000B214
	s_waitcnt lgkmcnt(0)                                       // 000000008990: BF8CC07F
	s_barrier                                                  // 000000008994: BF8A0000
	ds_read_b32 v118, v21                                      // 000000008998: D86C0000 76000015
	ds_read_b32 v119, v21 offset:64                            // 0000000089A0: D86C0040 77000015
	ds_read_b32 v122, v21 offset:2176                          // 0000000089A8: D86C0880 7A000015
	ds_read_b32 v123, v21 offset:2240                          // 0000000089B0: D86C08C0 7B000015
	ds_read_b32 v126, v21 offset:4352                          // 0000000089B8: D86C1100 7E000015
	ds_read_b32 v127, v21 offset:4416                          // 0000000089C0: D86C1140 7F000015
	ds_read_b32 v130, v21 offset:6528                          // 0000000089C8: D86C1980 82000015
	ds_read_b32 v131, v21 offset:6592                          // 0000000089D0: D86C19C0 83000015
	ds_read_b32 v134, v21 offset:8704                          // 0000000089D8: D86C2200 86000015
	ds_read_b32 v135, v21 offset:8768                          // 0000000089E0: D86C2240 87000015
	ds_read_b32 v138, v21 offset:10880                         // 0000000089E8: D86C2A80 8A000015
	ds_read_b32 v139, v21 offset:10944                         // 0000000089F0: D86C2AC0 8B000015
	ds_read_b32 v142, v21 offset:13056                         // 0000000089F8: D86C3300 8E000015
	ds_read_b32 v143, v21 offset:13120                         // 000000008A00: D86C3340 8F000015
	ds_read_b32 v146, v21 offset:15232                         // 000000008A08: D86C3B80 92000015
	ds_read_b32 v147, v21 offset:15296                         // 000000008A10: D86C3BC0 93000015
	ds_read_b32 v150, v21 offset:17408                         // 000000008A18: D86C4400 96000015
	ds_read_b32 v151, v21 offset:17472                         // 000000008A20: D86C4440 97000015
	ds_read_b32 v154, v21 offset:19584                         // 000000008A28: D86C4C80 9A000015
	ds_read_b32 v155, v21 offset:19648                         // 000000008A30: D86C4CC0 9B000015
	ds_read_b32 v158, v21 offset:21760                         // 000000008A38: D86C5500 9E000015
	ds_read_b32 v159, v21 offset:21824                         // 000000008A40: D86C5540 9F000015
	ds_read_b32 v162, v21 offset:23936                         // 000000008A48: D86C5D80 A2000015
	ds_read_b32 v163, v21 offset:24000                         // 000000008A50: D86C5DC0 A3000015
	ds_read_b32 v166, v21 offset:26112                         // 000000008A58: D86C6600 A6000015
	ds_read_b32 v167, v21 offset:26176                         // 000000008A60: D86C6640 A7000015
	ds_read_b32 v170, v21 offset:28288                         // 000000008A68: D86C6E80 AA000015
	ds_read_b32 v171, v21 offset:28352                         // 000000008A70: D86C6EC0 AB000015
	ds_read_b32 v174, v21 offset:30464                         // 000000008A78: D86C7700 AE000015
	ds_read_b32 v175, v21 offset:30528                         // 000000008A80: D86C7740 AF000015
	ds_read_b32 v178, v21 offset:32640                         // 000000008A88: D86C7F80 B2000015
	ds_read_b32 v179, v21 offset:32704                         // 000000008A90: D86C7FC0 B3000015
	s_waitcnt lgkmcnt(0)                                       // 000000008A98: BF8CC07F
	v_mov_b32_e32 v7, 0                                        // 000000008A9C: 7E0E0280
	s_mov_b64 exec, s[36:37]                                   // 000000008AA0: BEFE0124
	v_mov_b32_e32 v6, v39                                      // 000000008AA4: 7E0C0327
	s_mov_b64 s[60:61], 0                                      // 000000008AA8: BEBC0180
	v_readlane_b32 s82, v3, 0                                  // 000000008AAC: D2890052 00010103
	s_and_b32 s82, s82, 0xffffff                               // 000000008AB4: 8652FF52 00FFFFFF
	s_cmp_lt_u32 s82, s66                                      // 000000008ABC: BF0A4252
	s_cselect_b32 s20, s36, s60                                // 000000008AC0: 85143C24
	v_readlane_b32 s82, v3, 1                                  // 000000008AC4: D2890052 00010303
	s_and_b32 s82, s82, 0xffffff                               // 000000008ACC: 8652FF52 00FFFFFF
	s_cmp_lt_u32 s82, s66                                      // 000000008AD4: BF0A4252
	s_cselect_b32 s21, s36, s60                                // 000000008AD8: 85153C24
	s_mov_b64 exec, s[20:21]                                   // 000000008ADC: BEFE0114
	global_atomic_add_f32 v6, v118, s[8:9] offset:8            // 000000008AE0: DD348008 00087606
	global_atomic_add_f32 v6, v122, s[8:9] offset:264          // 000000008AE8: DD348108 00087A06
	global_atomic_add_f32 v6, v126, s[8:9] offset:520          // 000000008AF0: DD348208 00087E06
	global_atomic_add_f32 v6, v130, s[8:9] offset:776          // 000000008AF8: DD348308 00088206
	global_atomic_add_f32 v6, v134, s[8:9] offset:1032         // 000000008B00: DD348408 00088606
	global_atomic_add_f32 v6, v138, s[8:9] offset:1288         // 000000008B08: DD348508 00088A06
	global_atomic_add_f32 v6, v142, s[8:9] offset:1544         // 000000008B10: DD348608 00088E06
	global_atomic_add_f32 v6, v146, s[8:9] offset:1800         // 000000008B18: DD348708 00089206
	s_mov_b64 exec, s[36:37]                                   // 000000008B20: BEFE0124
	v_mov_b32_e32 v6, v40                                      // 000000008B24: 7E0C0328
	s_mov_b64 s[60:61], 0                                      // 000000008B28: BEBC0180
	v_readlane_b32 s82, v3, 2                                  // 000000008B2C: D2890052 00010503
	s_and_b32 s82, s82, 0xffffff                               // 000000008B34: 8652FF52 00FFFFFF
	s_cmp_lt_u32 s82, s66                                      // 000000008B3C: BF0A4252
	s_cselect_b32 s20, s36, s60                                // 000000008B40: 85143C24
	v_readlane_b32 s82, v3, 3                                  // 000000008B44: D2890052 00010703
	s_and_b32 s82, s82, 0xffffff                               // 000000008B4C: 8652FF52 00FFFFFF
	s_cmp_lt_u32 s82, s66                                      // 000000008B54: BF0A4252
	s_cselect_b32 s21, s36, s60                                // 000000008B58: 85153C24
	s_mov_b64 exec, s[20:21]                                   // 000000008B5C: BEFE0114
	global_atomic_add_f32 v6, v119, s[8:9] offset:8            // 000000008B60: DD348008 00087706
	global_atomic_add_f32 v6, v123, s[8:9] offset:264          // 000000008B68: DD348108 00087B06
	global_atomic_add_f32 v6, v127, s[8:9] offset:520          // 000000008B70: DD348208 00087F06
	global_atomic_add_f32 v6, v131, s[8:9] offset:776          // 000000008B78: DD348308 00088306
	global_atomic_add_f32 v6, v135, s[8:9] offset:1032         // 000000008B80: DD348408 00088706
	global_atomic_add_f32 v6, v139, s[8:9] offset:1288         // 000000008B88: DD348508 00088B06
	global_atomic_add_f32 v6, v143, s[8:9] offset:1544         // 000000008B90: DD348608 00088F06
	global_atomic_add_f32 v6, v147, s[8:9] offset:1800         // 000000008B98: DD348708 00089306
	s_mov_b64 exec, s[36:37]                                   // 000000008BA0: BEFE0124
	v_mov_b32_e32 v6, v41                                      // 000000008BA4: 7E0C0329
	s_mov_b64 s[60:61], 0                                      // 000000008BA8: BEBC0180
	v_readlane_b32 s82, v3, 4                                  // 000000008BAC: D2890052 00010903
	s_and_b32 s82, s82, 0xffffff                               // 000000008BB4: 8652FF52 00FFFFFF
	s_cmp_lt_u32 s82, s66                                      // 000000008BBC: BF0A4252
	s_cselect_b32 s20, s36, s60                                // 000000008BC0: 85143C24
	v_readlane_b32 s82, v3, 5                                  // 000000008BC4: D2890052 00010B03
	s_and_b32 s82, s82, 0xffffff                               // 000000008BCC: 8652FF52 00FFFFFF
	s_cmp_lt_u32 s82, s66                                      // 000000008BD4: BF0A4252
	s_cselect_b32 s21, s36, s60                                // 000000008BD8: 85153C24
	s_mov_b64 exec, s[20:21]                                   // 000000008BDC: BEFE0114
	global_atomic_add_f32 v6, v150, s[8:9] offset:8            // 000000008BE0: DD348008 00089606
	global_atomic_add_f32 v6, v154, s[8:9] offset:264          // 000000008BE8: DD348108 00089A06
	global_atomic_add_f32 v6, v158, s[8:9] offset:520          // 000000008BF0: DD348208 00089E06
	global_atomic_add_f32 v6, v162, s[8:9] offset:776          // 000000008BF8: DD348308 0008A206
	global_atomic_add_f32 v6, v166, s[8:9] offset:1032         // 000000008C00: DD348408 0008A606
	global_atomic_add_f32 v6, v170, s[8:9] offset:1288         // 000000008C08: DD348508 0008AA06
	global_atomic_add_f32 v6, v174, s[8:9] offset:1544         // 000000008C10: DD348608 0008AE06
	global_atomic_add_f32 v6, v178, s[8:9] offset:1800         // 000000008C18: DD348708 0008B206
	s_mov_b64 exec, s[36:37]                                   // 000000008C20: BEFE0124
	v_mov_b32_e32 v6, v42                                      // 000000008C24: 7E0C032A
	s_mov_b64 s[60:61], 0                                      // 000000008C28: BEBC0180
	v_readlane_b32 s82, v3, 6                                  // 000000008C2C: D2890052 00010D03
	s_and_b32 s82, s82, 0xffffff                               // 000000008C34: 8652FF52 00FFFFFF
	s_cmp_lt_u32 s82, s66                                      // 000000008C3C: BF0A4252
	s_cselect_b32 s20, s36, s60                                // 000000008C40: 85143C24
	v_readlane_b32 s82, v3, 7                                  // 000000008C44: D2890052 00010F03
	s_and_b32 s82, s82, 0xffffff                               // 000000008C4C: 8652FF52 00FFFFFF
	s_cmp_lt_u32 s82, s66                                      // 000000008C54: BF0A4252
	s_cselect_b32 s21, s36, s60                                // 000000008C58: 85153C24
	s_mov_b64 exec, s[20:21]                                   // 000000008C5C: BEFE0114
	global_atomic_add_f32 v6, v151, s[8:9] offset:8            // 000000008C60: DD348008 00089706
	global_atomic_add_f32 v6, v155, s[8:9] offset:264          // 000000008C68: DD348108 00089B06
	global_atomic_add_f32 v6, v159, s[8:9] offset:520          // 000000008C70: DD348208 00089F06
	global_atomic_add_f32 v6, v163, s[8:9] offset:776          // 000000008C78: DD348308 0008A306
	global_atomic_add_f32 v6, v167, s[8:9] offset:1032         // 000000008C80: DD348408 0008A706
	global_atomic_add_f32 v6, v171, s[8:9] offset:1288         // 000000008C88: DD348508 0008AB06
	global_atomic_add_f32 v6, v175, s[8:9] offset:1544         // 000000008C90: DD348608 0008AF06
	global_atomic_add_f32 v6, v179, s[8:9] offset:1800         // 000000008C98: DD348708 0008B306
	s_mov_b64 exec, s[36:37]                                   // 000000008CA0: BEFE0124
	s_branch label_2EE9                                        // 000000008CA4: BF82163C

0000000000008ca8 <label_18AD>:
	s_waitcnt vmcnt(20) lgkmcnt(0)                             // 000000008CA8: BF8C4074
	v_mfma_i32_16x16x32_i8 v[52:55], a[32:33], a[0:1], v[52:55]// 000000008CAC: D3D70034 1CD20120
	buffer_load_dwordx4 a[160:163], v43, s[24:27], 0 offen     // 000000008CB4: E05C1000 8086A02B
	v_mfma_i32_16x16x32_i8 v[52:55], a[34:35], a[2:3], v[52:55]// 000000008CBC: D3D70034 1CD20522
	v_mfma_i32_16x16x32_i8 v[52:55], a[36:37], a[4:5], v[52:55]// 000000008CC4: D3D70034 1CD20924
	v_mfma_i32_16x16x32_i8 v[52:55], a[38:39], a[6:7], v[52:55]// 000000008CCC: D3D70034 1CD20D26
	v_mfma_i32_16x16x32_i8 v[60:63], a[40:41], a[0:1], v[60:63]// 000000008CD4: D3D7003C 1CF20128
	buffer_load_dwordx4 a[164:167], v43, s[24:27], 0 offen offset:1024// 000000008CDC: E05C1400 8086A42B
	v_mfma_i32_16x16x32_i8 v[60:63], a[42:43], a[2:3], v[60:63]// 000000008CE4: D3D7003C 1CF2052A
	v_mfma_i32_16x16x32_i8 v[60:63], a[44:45], a[4:5], v[60:63]// 000000008CEC: D3D7003C 1CF2092C
	v_mfma_i32_16x16x32_i8 v[60:63], a[46:47], a[6:7], v[60:63]// 000000008CF4: D3D7003C 1CF20D2E
	v_mfma_i32_16x16x32_i8 v[68:71], a[48:49], a[0:1], v[68:71]// 000000008CFC: D3D70044 1D120130
	buffer_load_dwordx4 a[168:171], v44, s[24:27], 0 offen     // 000000008D04: E05C1000 8086A82C
	v_mfma_i32_16x16x32_i8 v[68:71], a[50:51], a[2:3], v[68:71]// 000000008D0C: D3D70044 1D120532
	v_mfma_i32_16x16x32_i8 v[68:71], a[52:53], a[4:5], v[68:71]// 000000008D14: D3D70044 1D120934
	v_mfma_i32_16x16x32_i8 v[68:71], a[54:55], a[6:7], v[68:71]// 000000008D1C: D3D70044 1D120D36
	v_mfma_i32_16x16x32_i8 v[76:79], a[56:57], a[0:1], v[76:79]// 000000008D24: D3D7004C 1D320138
	buffer_load_dwordx4 a[172:175], v44, s[24:27], 0 offen offset:1024// 000000008D2C: E05C1400 8086AC2C
	v_mfma_i32_16x16x32_i8 v[76:79], a[58:59], a[2:3], v[76:79]// 000000008D34: D3D7004C 1D32053A
	v_mfma_i32_16x16x32_i8 v[76:79], a[60:61], a[4:5], v[76:79]// 000000008D3C: D3D7004C 1D32093C
	v_mfma_i32_16x16x32_i8 v[76:79], a[62:63], a[6:7], v[76:79]// 000000008D44: D3D7004C 1D320D3E
	v_mfma_i32_16x16x32_i8 v[84:87], a[64:65], a[0:1], v[84:87]// 000000008D4C: D3D70054 1D520140
	buffer_load_dwordx4 a[176:179], v45, s[24:27], 0 offen     // 000000008D54: E05C1000 8086B02D
	v_mfma_i32_16x16x32_i8 v[84:87], a[66:67], a[2:3], v[84:87]// 000000008D5C: D3D70054 1D520542
	v_mfma_i32_16x16x32_i8 v[84:87], a[68:69], a[4:5], v[84:87]// 000000008D64: D3D70054 1D520944
	v_mfma_i32_16x16x32_i8 v[84:87], a[70:71], a[6:7], v[84:87]// 000000008D6C: D3D70054 1D520D46
	v_mfma_i32_16x16x32_i8 v[92:95], a[72:73], a[0:1], v[92:95]// 000000008D74: D3D7005C 1D720148
	buffer_load_dwordx4 a[180:183], v45, s[24:27], 0 offen offset:1024// 000000008D7C: E05C1400 8086B42D
	v_mfma_i32_16x16x32_i8 v[92:95], a[74:75], a[2:3], v[92:95]// 000000008D84: D3D7005C 1D72054A
	v_mfma_i32_16x16x32_i8 v[92:95], a[76:77], a[4:5], v[92:95]// 000000008D8C: D3D7005C 1D72094C
	v_mfma_i32_16x16x32_i8 v[92:95], a[78:79], a[6:7], v[92:95]// 000000008D94: D3D7005C 1D720D4E
	v_mfma_i32_16x16x32_i8 v[100:103], a[80:81], a[0:1], v[100:103]// 000000008D9C: D3D70064 1D920150
	buffer_load_dwordx4 a[184:187], v46, s[24:27], 0 offen     // 000000008DA4: E05C1000 8086B82E
	v_mfma_i32_16x16x32_i8 v[100:103], a[82:83], a[2:3], v[100:103]// 000000008DAC: D3D70064 1D920552
	v_mfma_i32_16x16x32_i8 v[100:103], a[84:85], a[4:5], v[100:103]// 000000008DB4: D3D70064 1D920954
	v_mfma_i32_16x16x32_i8 v[100:103], a[86:87], a[6:7], v[100:103]// 000000008DBC: D3D70064 1D920D56
	v_mfma_i32_16x16x32_i8 v[108:111], a[88:89], a[0:1], v[108:111]// 000000008DC4: D3D7006C 1DB20158
	buffer_load_dwordx4 a[188:191], v46, s[24:27], 0 offen offset:1024// 000000008DCC: E05C1400 8086BC2E
	v_mfma_i32_16x16x32_i8 v[108:111], a[90:91], a[2:3], v[108:111]// 000000008DD4: D3D7006C 1DB2055A
	v_mfma_i32_16x16x32_i8 v[108:111], a[92:93], a[4:5], v[108:111]// 000000008DDC: D3D7006C 1DB2095C
	v_mfma_i32_16x16x32_i8 v[108:111], a[94:95], a[6:7], v[108:111]// 000000008DE4: D3D7006C 1DB20D5E
	v_mfma_i32_16x16x32_i8 v[56:59], a[32:33], a[8:9], v[56:59]// 000000008DEC: D3D70038 1CE21120
	buffer_load_dwordx4 a[192:195], v47, s[24:27], 0 offen     // 000000008DF4: E05C1000 8086C02F
	v_mfma_i32_16x16x32_i8 v[56:59], a[34:35], a[10:11], v[56:59]// 000000008DFC: D3D70038 1CE21522
	v_mfma_i32_16x16x32_i8 v[56:59], a[36:37], a[12:13], v[56:59]// 000000008E04: D3D70038 1CE21924
	v_mfma_i32_16x16x32_i8 v[56:59], a[38:39], a[14:15], v[56:59]// 000000008E0C: D3D70038 1CE21D26
	v_mfma_i32_16x16x32_i8 v[64:67], a[40:41], a[8:9], v[64:67]// 000000008E14: D3D70040 1D021128
	buffer_load_dwordx4 a[196:199], v47, s[24:27], 0 offen offset:1024// 000000008E1C: E05C1400 8086C42F
	v_mfma_i32_16x16x32_i8 v[64:67], a[42:43], a[10:11], v[64:67]// 000000008E24: D3D70040 1D02152A
	v_mfma_i32_16x16x32_i8 v[64:67], a[44:45], a[12:13], v[64:67]// 000000008E2C: D3D70040 1D02192C
	v_mfma_i32_16x16x32_i8 v[64:67], a[46:47], a[14:15], v[64:67]// 000000008E34: D3D70040 1D021D2E
	v_mfma_i32_16x16x32_i8 v[72:75], a[48:49], a[8:9], v[72:75]// 000000008E3C: D3D70048 1D221130
	buffer_load_dwordx4 a[200:203], v48, s[24:27], 0 offen     // 000000008E44: E05C1000 8086C830
	v_mfma_i32_16x16x32_i8 v[72:75], a[50:51], a[10:11], v[72:75]// 000000008E4C: D3D70048 1D221532
	v_mfma_i32_16x16x32_i8 v[72:75], a[52:53], a[12:13], v[72:75]// 000000008E54: D3D70048 1D221934
	v_mfma_i32_16x16x32_i8 v[72:75], a[54:55], a[14:15], v[72:75]// 000000008E5C: D3D70048 1D221D36
	v_mfma_i32_16x16x32_i8 v[80:83], a[56:57], a[8:9], v[80:83]// 000000008E64: D3D70050 1D421138
	buffer_load_dwordx4 a[204:207], v48, s[24:27], 0 offen offset:1024// 000000008E6C: E05C1400 8086CC30
	v_mfma_i32_16x16x32_i8 v[80:83], a[58:59], a[10:11], v[80:83]// 000000008E74: D3D70050 1D42153A
	v_mfma_i32_16x16x32_i8 v[80:83], a[60:61], a[12:13], v[80:83]// 000000008E7C: D3D70050 1D42193C
	v_mfma_i32_16x16x32_i8 v[80:83], a[62:63], a[14:15], v[80:83]// 000000008E84: D3D70050 1D421D3E
	v_mfma_i32_16x16x32_i8 v[88:91], a[64:65], a[8:9], v[88:91]// 000000008E8C: D3D70058 1D621140
	buffer_load_dwordx4 a[208:211], v49, s[24:27], 0 offen     // 000000008E94: E05C1000 8086D031
	v_mfma_i32_16x16x32_i8 v[88:91], a[66:67], a[10:11], v[88:91]// 000000008E9C: D3D70058 1D621542
	v_mfma_i32_16x16x32_i8 v[88:91], a[68:69], a[12:13], v[88:91]// 000000008EA4: D3D70058 1D621944
	v_mfma_i32_16x16x32_i8 v[88:91], a[70:71], a[14:15], v[88:91]// 000000008EAC: D3D70058 1D621D46
	v_mfma_i32_16x16x32_i8 v[96:99], a[72:73], a[8:9], v[96:99]// 000000008EB4: D3D70060 1D821148
	buffer_load_dwordx4 a[212:215], v49, s[24:27], 0 offen offset:1024// 000000008EBC: E05C1400 8086D431
	v_mfma_i32_16x16x32_i8 v[96:99], a[74:75], a[10:11], v[96:99]// 000000008EC4: D3D70060 1D82154A
	v_mfma_i32_16x16x32_i8 v[96:99], a[76:77], a[12:13], v[96:99]// 000000008ECC: D3D70060 1D82194C
	v_mfma_i32_16x16x32_i8 v[96:99], a[78:79], a[14:15], v[96:99]// 000000008ED4: D3D70060 1D821D4E
	v_mfma_i32_16x16x32_i8 v[104:107], a[80:81], a[8:9], v[104:107]// 000000008EDC: D3D70068 1DA21150
	buffer_load_dwordx4 a[216:219], v50, s[24:27], 0 offen     // 000000008EE4: E05C1000 8086D832
	v_mfma_i32_16x16x32_i8 v[104:107], a[82:83], a[10:11], v[104:107]// 000000008EEC: D3D70068 1DA21552
	v_mfma_i32_16x16x32_i8 v[104:107], a[84:85], a[12:13], v[104:107]// 000000008EF4: D3D70068 1DA21954
	v_mfma_i32_16x16x32_i8 v[104:107], a[86:87], a[14:15], v[104:107]// 000000008EFC: D3D70068 1DA21D56
	v_mfma_i32_16x16x32_i8 v[112:115], a[88:89], a[8:9], v[112:115]// 000000008F04: D3D70070 1DC21158
	buffer_load_dwordx4 a[220:223], v50, s[24:27], 0 offen offset:1024// 000000008F0C: E05C1400 8086DC32
	buffer_load_dword v39, s[20:23], 0 offen lds               // 000000008F14: E0511000 80050027
	s_add_u32 m0, 0x100, s50                                   // 000000008F1C: 807C32FF 00000100
	v_mfma_i32_16x16x32_i8 v[112:115], a[90:91], a[10:11], v[112:115]// 000000008F24: D3D70070 1DC2155A
	v_mfma_i32_16x16x32_i8 v[112:115], a[92:93], a[12:13], v[112:115]// 000000008F2C: D3D70070 1DC2195C
	buffer_load_dword v40, s[20:23], 0 offen lds               // 000000008F34: E0511000 80050028
	s_add_u32 m0, 0x200, s50                                   // 000000008F3C: 807C32FF 00000200
	v_mfma_i32_16x16x32_i8 v[112:115], a[94:95], a[14:15], v[112:115]// 000000008F44: D3D70070 1DC21D5E
	buffer_load_dword v41, s[20:23], 0 offen lds               // 000000008F4C: E0511000 80050029
	s_add_u32 m0, 0x300, s50                                   // 000000008F54: 807C32FF 00000300
	buffer_load_dword v42, s[20:23], 0 offen lds               // 000000008F5C: E0511000 8005002A
	s_add_u32 m0, 0, s48                                       // 000000008F64: 807C3080
	s_waitcnt vmcnt(20)                                        // 000000008F68: BF8C4F74
	s_barrier                                                  // 000000008F6C: BF8A0000
	v_mfma_i32_16x16x32_i8 v[116:119], a[96:97], a[0:1], v[116:119]// 000000008F70: D3D70074 1DD20160
	buffer_load_dwordx4 a[32:35], v43, s[84:87], 0 offen       // 000000008F78: E05C1000 8095202B
	v_mfma_i32_16x16x32_i8 v[116:119], a[98:99], a[2:3], v[116:119]// 000000008F80: D3D70074 1DD20562
	v_mfma_i32_16x16x32_i8 v[116:119], a[100:101], a[4:5], v[116:119]// 000000008F88: D3D70074 1DD20964
	ds_read_b128 a[16:19], v2 offset:4224                      // 000000008F90: DBFE1080 10000002
	ds_read_b128 a[20:23], v2 offset:4288                      // 000000008F98: DBFE10C0 14000002
	v_mfma_i32_16x16x32_i8 v[116:119], a[102:103], a[6:7], v[116:119]// 000000008FA0: D3D70074 1DD20D66
	v_mfma_i32_16x16x32_i8 v[124:127], a[104:105], a[0:1], v[124:127]// 000000008FA8: D3D7007C 1DF20168
	buffer_load_dwordx4 a[36:39], v43, s[84:87], 0 offen offset:1024// 000000008FB0: E05C1400 8095242B
	v_mfma_i32_16x16x32_i8 v[124:127], a[106:107], a[2:3], v[124:127]// 000000008FB8: D3D7007C 1DF2056A
	v_mfma_i32_16x16x32_i8 v[124:127], a[108:109], a[4:5], v[124:127]// 000000008FC0: D3D7007C 1DF2096C
	ds_read_b128 a[24:27], v2 offset:4736                      // 000000008FC8: DBFE1280 18000002
	ds_read_b128 a[28:31], v2 offset:4800                      // 000000008FD0: DBFE12C0 1C000002
	v_mfma_i32_16x16x32_i8 v[124:127], a[110:111], a[6:7], v[124:127]// 000000008FD8: D3D7007C 1DF20D6E
	v_mfma_i32_16x16x32_i8 v[132:135], a[112:113], a[0:1], v[132:135]// 000000008FE0: D3D70084 1E120170
	buffer_load_dwordx4 a[40:43], v44, s[84:87], 0 offen       // 000000008FE8: E05C1000 8095282C
	v_mfma_i32_16x16x32_i8 v[132:135], a[114:115], a[2:3], v[132:135]// 000000008FF0: D3D70084 1E120572
	v_mfma_i32_16x16x32_i8 v[132:135], a[116:117], a[4:5], v[132:135]// 000000008FF8: D3D70084 1E120974
	v_mfma_i32_16x16x32_i8 v[132:135], a[118:119], a[6:7], v[132:135]// 000000009000: D3D70084 1E120D76
	v_mfma_i32_16x16x32_i8 v[140:143], a[120:121], a[0:1], v[140:143]// 000000009008: D3D7008C 1E320178
	buffer_load_dwordx4 a[44:47], v44, s[84:87], 0 offen offset:1024// 000000009010: E05C1400 80952C2C
	v_mfma_i32_16x16x32_i8 v[140:143], a[122:123], a[2:3], v[140:143]// 000000009018: D3D7008C 1E32057A
	v_mfma_i32_16x16x32_i8 v[140:143], a[124:125], a[4:5], v[140:143]// 000000009020: D3D7008C 1E32097C
	v_mfma_i32_16x16x32_i8 v[140:143], a[126:127], a[6:7], v[140:143]// 000000009028: D3D7008C 1E320D7E
	v_mfma_i32_16x16x32_i8 v[148:151], a[128:129], a[0:1], v[148:151]// 000000009030: D3D70094 1E520180
	buffer_load_dwordx4 a[48:51], v45, s[84:87], 0 offen       // 000000009038: E05C1000 8095302D
	v_mfma_i32_16x16x32_i8 v[148:151], a[130:131], a[2:3], v[148:151]// 000000009040: D3D70094 1E520582
	v_mfma_i32_16x16x32_i8 v[148:151], a[132:133], a[4:5], v[148:151]// 000000009048: D3D70094 1E520984
	v_mfma_i32_16x16x32_i8 v[148:151], a[134:135], a[6:7], v[148:151]// 000000009050: D3D70094 1E520D86
	v_mfma_i32_16x16x32_i8 v[156:159], a[136:137], a[0:1], v[156:159]// 000000009058: D3D7009C 1E720188
	buffer_load_dwordx4 a[52:55], v45, s[84:87], 0 offen offset:1024// 000000009060: E05C1400 8095342D
	v_mfma_i32_16x16x32_i8 v[156:159], a[138:139], a[2:3], v[156:159]// 000000009068: D3D7009C 1E72058A
	v_mfma_i32_16x16x32_i8 v[156:159], a[140:141], a[4:5], v[156:159]// 000000009070: D3D7009C 1E72098C
	v_mfma_i32_16x16x32_i8 v[156:159], a[142:143], a[6:7], v[156:159]// 000000009078: D3D7009C 1E720D8E
	v_mfma_i32_16x16x32_i8 v[164:167], a[144:145], a[0:1], v[164:167]// 000000009080: D3D700A4 1E920190
	buffer_load_dwordx4 a[56:59], v46, s[84:87], 0 offen       // 000000009088: E05C1000 8095382E
	v_mfma_i32_16x16x32_i8 v[164:167], a[146:147], a[2:3], v[164:167]// 000000009090: D3D700A4 1E920592
	v_mfma_i32_16x16x32_i8 v[164:167], a[148:149], a[4:5], v[164:167]// 000000009098: D3D700A4 1E920994
	v_mfma_i32_16x16x32_i8 v[164:167], a[150:151], a[6:7], v[164:167]// 0000000090A0: D3D700A4 1E920D96
	v_mfma_i32_16x16x32_i8 v[172:175], a[152:153], a[0:1], v[172:175]// 0000000090A8: D3D700AC 1EB20198
	buffer_load_dwordx4 a[60:63], v46, s[84:87], 0 offen offset:1024// 0000000090B0: E05C1400 80953C2E
	v_mfma_i32_16x16x32_i8 v[172:175], a[154:155], a[2:3], v[172:175]// 0000000090B8: D3D700AC 1EB2059A
	v_mfma_i32_16x16x32_i8 v[172:175], a[156:157], a[4:5], v[172:175]// 0000000090C0: D3D700AC 1EB2099C
	v_mfma_i32_16x16x32_i8 v[172:175], a[158:159], a[6:7], v[172:175]// 0000000090C8: D3D700AC 1EB20D9E
	v_mfma_i32_16x16x32_i8 v[120:123], a[96:97], a[8:9], v[120:123]// 0000000090D0: D3D70078 1DE21160
	buffer_load_dwordx4 a[64:67], v47, s[84:87], 0 offen       // 0000000090D8: E05C1000 8095402F
	v_mfma_i32_16x16x32_i8 v[120:123], a[98:99], a[10:11], v[120:123]// 0000000090E0: D3D70078 1DE21562
	v_mfma_i32_16x16x32_i8 v[120:123], a[100:101], a[12:13], v[120:123]// 0000000090E8: D3D70078 1DE21964
	v_mfma_i32_16x16x32_i8 v[120:123], a[102:103], a[14:15], v[120:123]// 0000000090F0: D3D70078 1DE21D66
	v_mfma_i32_16x16x32_i8 v[128:131], a[104:105], a[8:9], v[128:131]// 0000000090F8: D3D70080 1E021168
	buffer_load_dwordx4 a[68:71], v47, s[84:87], 0 offen offset:1024// 000000009100: E05C1400 8095442F
	v_mfma_i32_16x16x32_i8 v[128:131], a[106:107], a[10:11], v[128:131]// 000000009108: D3D70080 1E02156A
	v_mfma_i32_16x16x32_i8 v[128:131], a[108:109], a[12:13], v[128:131]// 000000009110: D3D70080 1E02196C
	v_mfma_i32_16x16x32_i8 v[128:131], a[110:111], a[14:15], v[128:131]// 000000009118: D3D70080 1E021D6E
	v_mfma_i32_16x16x32_i8 v[136:139], a[112:113], a[8:9], v[136:139]// 000000009120: D3D70088 1E221170
	buffer_load_dwordx4 a[72:75], v48, s[84:87], 0 offen       // 000000009128: E05C1000 80954830
	v_mfma_i32_16x16x32_i8 v[136:139], a[114:115], a[10:11], v[136:139]// 000000009130: D3D70088 1E221572
	v_mfma_i32_16x16x32_i8 v[136:139], a[116:117], a[12:13], v[136:139]// 000000009138: D3D70088 1E221974
	v_mfma_i32_16x16x32_i8 v[136:139], a[118:119], a[14:15], v[136:139]// 000000009140: D3D70088 1E221D76
	v_mfma_i32_16x16x32_i8 v[144:147], a[120:121], a[8:9], v[144:147]// 000000009148: D3D70090 1E421178
	buffer_load_dwordx4 a[76:79], v48, s[84:87], 0 offen offset:1024// 000000009150: E05C1400 80954C30
	v_mfma_i32_16x16x32_i8 v[144:147], a[122:123], a[10:11], v[144:147]// 000000009158: D3D70090 1E42157A
	v_mfma_i32_16x16x32_i8 v[144:147], a[124:125], a[12:13], v[144:147]// 000000009160: D3D70090 1E42197C
	v_mfma_i32_16x16x32_i8 v[144:147], a[126:127], a[14:15], v[144:147]// 000000009168: D3D70090 1E421D7E
	v_mfma_i32_16x16x32_i8 v[152:155], a[128:129], a[8:9], v[152:155]// 000000009170: D3D70098 1E621180
	buffer_load_dwordx4 a[80:83], v49, s[84:87], 0 offen       // 000000009178: E05C1000 80955031
	v_mfma_i32_16x16x32_i8 v[152:155], a[130:131], a[10:11], v[152:155]// 000000009180: D3D70098 1E621582
	v_mfma_i32_16x16x32_i8 v[152:155], a[132:133], a[12:13], v[152:155]// 000000009188: D3D70098 1E621984
	v_mfma_i32_16x16x32_i8 v[152:155], a[134:135], a[14:15], v[152:155]// 000000009190: D3D70098 1E621D86
	v_mfma_i32_16x16x32_i8 v[160:163], a[136:137], a[8:9], v[160:163]// 000000009198: D3D700A0 1E821188
	buffer_load_dwordx4 a[84:87], v49, s[84:87], 0 offen offset:1024// 0000000091A0: E05C1400 80955431
	v_mfma_i32_16x16x32_i8 v[160:163], a[138:139], a[10:11], v[160:163]// 0000000091A8: D3D700A0 1E82158A
	v_mfma_i32_16x16x32_i8 v[160:163], a[140:141], a[12:13], v[160:163]// 0000000091B0: D3D700A0 1E82198C
	v_mfma_i32_16x16x32_i8 v[160:163], a[142:143], a[14:15], v[160:163]// 0000000091B8: D3D700A0 1E821D8E
	v_mfma_i32_16x16x32_i8 v[168:171], a[144:145], a[8:9], v[168:171]// 0000000091C0: D3D700A8 1EA21190
	buffer_load_dwordx4 a[88:91], v50, s[84:87], 0 offen       // 0000000091C8: E05C1000 80955832
	s_add_u32 s60, 0x180, s80                                  // 0000000091D0: 803C50FF 00000180
	s_cmp_lt_u32 s60, s81                                      // 0000000091D8: BF0A513C
	s_cselect_b32 s57, s57, 0                                  // 0000000091DC: 85398039
	v_mfma_i32_16x16x32_i8 v[168:171], a[146:147], a[10:11], v[168:171]// 0000000091E0: D3D700A8 1EA21592
	s_add_u32 s60, 0x100, s80                                  // 0000000091E8: 803C50FF 00000100
	s_cmp_lt_u32 s60, s81                                      // 0000000091F0: BF0A513C
	s_cselect_b32 s58, s58, 0                                  // 0000000091F4: 853A803A
	v_mfma_i32_16x16x32_i8 v[168:171], a[148:149], a[12:13], v[168:171]// 0000000091F8: D3D700A8 1EA21994
	s_add_u32 s60, 0x100, s80                                  // 000000009200: 803C50FF 00000100
	s_cmp_lt_u32 s60, s81                                      // 000000009208: BF0A513C
	s_cselect_b32 s83, s83, 0                                  // 00000000920C: 85538053
	v_mfma_i32_16x16x32_i8 v[168:171], a[150:151], a[14:15], v[168:171]// 000000009210: D3D700A8 1EA21D96
	s_add_u32 s24, s58, s24                                    // 000000009218: 8018183A
	s_addc_u32 s25, 0, s25                                     // 00000000921C: 82191980
	v_mfma_i32_16x16x32_i8 v[176:179], a[152:153], a[8:9], v[176:179]// 000000009220: D3D700B0 1EC21198
	buffer_load_dwordx4 a[92:95], v50, s[84:87], 0 offen offset:1024// 000000009228: E05C1400 80955C32
	s_add_u32 s20, s57, s20                                    // 000000009230: 80141439
	s_addc_u32 s21, 0, s21                                     // 000000009234: 82151580
	v_mfma_i32_16x16x32_i8 v[176:179], a[154:155], a[10:11], v[176:179]// 000000009238: D3D700B0 1EC2159A
	s_add_u32 s84, s83, s84                                    // 000000009240: 80545453
	s_addc_u32 s85, 0, s85                                     // 000000009244: 82555580
	v_mfma_i32_16x16x32_i8 v[176:179], a[156:157], a[12:13], v[176:179]// 000000009248: D3D700B0 1EC2199C
	v_mfma_i32_16x16x32_i8 v[176:179], a[158:159], a[14:15], v[176:179]// 000000009250: D3D700B0 1EC21D9E
	s_addk_i32 s80, 0x80                                       // 000000009258: B7500080
	s_cmp_lt_i32 s80, s81                                      // 00000000925C: BF045150
	s_cbranch_scc0 label_2148                                  // 000000009260: BF84072C
	s_waitcnt vmcnt(20) lgkmcnt(0)                             // 000000009264: BF8C4074
	v_mfma_i32_16x16x32_i8 v[52:55], a[160:161], a[16:17], v[52:55]// 000000009268: D3D70034 1CD221A0
	buffer_load_dwordx4 a[96:99], v43, s[24:27], 0 offen       // 000000009270: E05C1000 8086602B
	v_mfma_i32_16x16x32_i8 v[52:55], a[162:163], a[18:19], v[52:55]// 000000009278: D3D70034 1CD225A2
	v_mfma_i32_16x16x32_i8 v[52:55], a[164:165], a[20:21], v[52:55]// 000000009280: D3D70034 1CD229A4
	v_mfma_i32_16x16x32_i8 v[52:55], a[166:167], a[22:23], v[52:55]// 000000009288: D3D70034 1CD22DA6
	v_mfma_i32_16x16x32_i8 v[60:63], a[168:169], a[16:17], v[60:63]// 000000009290: D3D7003C 1CF221A8
	buffer_load_dwordx4 a[100:103], v43, s[24:27], 0 offen offset:1024// 000000009298: E05C1400 8086642B
	v_mfma_i32_16x16x32_i8 v[60:63], a[170:171], a[18:19], v[60:63]// 0000000092A0: D3D7003C 1CF225AA
	v_mfma_i32_16x16x32_i8 v[60:63], a[172:173], a[20:21], v[60:63]// 0000000092A8: D3D7003C 1CF229AC
	v_mfma_i32_16x16x32_i8 v[60:63], a[174:175], a[22:23], v[60:63]// 0000000092B0: D3D7003C 1CF22DAE
	v_mfma_i32_16x16x32_i8 v[68:71], a[176:177], a[16:17], v[68:71]// 0000000092B8: D3D70044 1D1221B0
	buffer_load_dwordx4 a[104:107], v44, s[24:27], 0 offen     // 0000000092C0: E05C1000 8086682C
	v_mfma_i32_16x16x32_i8 v[68:71], a[178:179], a[18:19], v[68:71]// 0000000092C8: D3D70044 1D1225B2
	v_mfma_i32_16x16x32_i8 v[68:71], a[180:181], a[20:21], v[68:71]// 0000000092D0: D3D70044 1D1229B4
	v_mfma_i32_16x16x32_i8 v[68:71], a[182:183], a[22:23], v[68:71]// 0000000092D8: D3D70044 1D122DB6
	v_mfma_i32_16x16x32_i8 v[76:79], a[184:185], a[16:17], v[76:79]// 0000000092E0: D3D7004C 1D3221B8
	buffer_load_dwordx4 a[108:111], v44, s[24:27], 0 offen offset:1024// 0000000092E8: E05C1400 80866C2C
	v_mfma_i32_16x16x32_i8 v[76:79], a[186:187], a[18:19], v[76:79]// 0000000092F0: D3D7004C 1D3225BA
	v_mfma_i32_16x16x32_i8 v[76:79], a[188:189], a[20:21], v[76:79]// 0000000092F8: D3D7004C 1D3229BC
	v_mfma_i32_16x16x32_i8 v[76:79], a[190:191], a[22:23], v[76:79]// 000000009300: D3D7004C 1D322DBE
	v_mfma_i32_16x16x32_i8 v[84:87], a[192:193], a[16:17], v[84:87]// 000000009308: D3D70054 1D5221C0
	buffer_load_dwordx4 a[112:115], v45, s[24:27], 0 offen     // 000000009310: E05C1000 8086702D
	v_mfma_i32_16x16x32_i8 v[84:87], a[194:195], a[18:19], v[84:87]// 000000009318: D3D70054 1D5225C2
	v_mfma_i32_16x16x32_i8 v[84:87], a[196:197], a[20:21], v[84:87]// 000000009320: D3D70054 1D5229C4
	v_mfma_i32_16x16x32_i8 v[84:87], a[198:199], a[22:23], v[84:87]// 000000009328: D3D70054 1D522DC6
	v_mfma_i32_16x16x32_i8 v[92:95], a[200:201], a[16:17], v[92:95]// 000000009330: D3D7005C 1D7221C8
	buffer_load_dwordx4 a[116:119], v45, s[24:27], 0 offen offset:1024// 000000009338: E05C1400 8086742D
	v_mfma_i32_16x16x32_i8 v[92:95], a[202:203], a[18:19], v[92:95]// 000000009340: D3D7005C 1D7225CA
	v_mfma_i32_16x16x32_i8 v[92:95], a[204:205], a[20:21], v[92:95]// 000000009348: D3D7005C 1D7229CC
	v_mfma_i32_16x16x32_i8 v[92:95], a[206:207], a[22:23], v[92:95]// 000000009350: D3D7005C 1D722DCE
	v_mfma_i32_16x16x32_i8 v[100:103], a[208:209], a[16:17], v[100:103]// 000000009358: D3D70064 1D9221D0
	buffer_load_dwordx4 a[120:123], v46, s[24:27], 0 offen     // 000000009360: E05C1000 8086782E
	v_mfma_i32_16x16x32_i8 v[100:103], a[210:211], a[18:19], v[100:103]// 000000009368: D3D70064 1D9225D2
	v_mfma_i32_16x16x32_i8 v[100:103], a[212:213], a[20:21], v[100:103]// 000000009370: D3D70064 1D9229D4
	v_mfma_i32_16x16x32_i8 v[100:103], a[214:215], a[22:23], v[100:103]// 000000009378: D3D70064 1D922DD6
	v_mfma_i32_16x16x32_i8 v[108:111], a[216:217], a[16:17], v[108:111]// 000000009380: D3D7006C 1DB221D8
	buffer_load_dwordx4 a[124:127], v46, s[24:27], 0 offen offset:1024// 000000009388: E05C1400 80867C2E
	v_mfma_i32_16x16x32_i8 v[108:111], a[218:219], a[18:19], v[108:111]// 000000009390: D3D7006C 1DB225DA
	v_mfma_i32_16x16x32_i8 v[108:111], a[220:221], a[20:21], v[108:111]// 000000009398: D3D7006C 1DB229DC
	v_mfma_i32_16x16x32_i8 v[108:111], a[222:223], a[22:23], v[108:111]// 0000000093A0: D3D7006C 1DB22DDE
	v_mfma_i32_16x16x32_i8 v[56:59], a[160:161], a[24:25], v[56:59]// 0000000093A8: D3D70038 1CE231A0
	buffer_load_dwordx4 a[128:131], v47, s[24:27], 0 offen     // 0000000093B0: E05C1000 8086802F
	v_mfma_i32_16x16x32_i8 v[56:59], a[162:163], a[26:27], v[56:59]// 0000000093B8: D3D70038 1CE235A2
	v_mfma_i32_16x16x32_i8 v[56:59], a[164:165], a[28:29], v[56:59]// 0000000093C0: D3D70038 1CE239A4
	v_mfma_i32_16x16x32_i8 v[56:59], a[166:167], a[30:31], v[56:59]// 0000000093C8: D3D70038 1CE23DA6
	v_mfma_i32_16x16x32_i8 v[64:67], a[168:169], a[24:25], v[64:67]// 0000000093D0: D3D70040 1D0231A8
	buffer_load_dwordx4 a[132:135], v47, s[24:27], 0 offen offset:1024// 0000000093D8: E05C1400 8086842F
	v_mfma_i32_16x16x32_i8 v[64:67], a[170:171], a[26:27], v[64:67]// 0000000093E0: D3D70040 1D0235AA
	v_mfma_i32_16x16x32_i8 v[64:67], a[172:173], a[28:29], v[64:67]// 0000000093E8: D3D70040 1D0239AC
	v_mfma_i32_16x16x32_i8 v[64:67], a[174:175], a[30:31], v[64:67]// 0000000093F0: D3D70040 1D023DAE
	v_mfma_i32_16x16x32_i8 v[72:75], a[176:177], a[24:25], v[72:75]// 0000000093F8: D3D70048 1D2231B0
	buffer_load_dwordx4 a[136:139], v48, s[24:27], 0 offen     // 000000009400: E05C1000 80868830
	v_mfma_i32_16x16x32_i8 v[72:75], a[178:179], a[26:27], v[72:75]// 000000009408: D3D70048 1D2235B2
	v_mfma_i32_16x16x32_i8 v[72:75], a[180:181], a[28:29], v[72:75]// 000000009410: D3D70048 1D2239B4
	v_mfma_i32_16x16x32_i8 v[72:75], a[182:183], a[30:31], v[72:75]// 000000009418: D3D70048 1D223DB6
	v_mfma_i32_16x16x32_i8 v[80:83], a[184:185], a[24:25], v[80:83]// 000000009420: D3D70050 1D4231B8
	buffer_load_dwordx4 a[140:143], v48, s[24:27], 0 offen offset:1024// 000000009428: E05C1400 80868C30
	v_mfma_i32_16x16x32_i8 v[80:83], a[186:187], a[26:27], v[80:83]// 000000009430: D3D70050 1D4235BA
	v_mfma_i32_16x16x32_i8 v[80:83], a[188:189], a[28:29], v[80:83]// 000000009438: D3D70050 1D4239BC
	v_mfma_i32_16x16x32_i8 v[80:83], a[190:191], a[30:31], v[80:83]// 000000009440: D3D70050 1D423DBE
	v_mfma_i32_16x16x32_i8 v[88:91], a[192:193], a[24:25], v[88:91]// 000000009448: D3D70058 1D6231C0
	buffer_load_dwordx4 a[144:147], v49, s[24:27], 0 offen     // 000000009450: E05C1000 80869031
	v_mfma_i32_16x16x32_i8 v[88:91], a[194:195], a[26:27], v[88:91]// 000000009458: D3D70058 1D6235C2
	v_mfma_i32_16x16x32_i8 v[88:91], a[196:197], a[28:29], v[88:91]// 000000009460: D3D70058 1D6239C4
	v_mfma_i32_16x16x32_i8 v[88:91], a[198:199], a[30:31], v[88:91]// 000000009468: D3D70058 1D623DC6
	v_mfma_i32_16x16x32_i8 v[96:99], a[200:201], a[24:25], v[96:99]// 000000009470: D3D70060 1D8231C8
	buffer_load_dwordx4 a[148:151], v49, s[24:27], 0 offen offset:1024// 000000009478: E05C1400 80869431
	v_mfma_i32_16x16x32_i8 v[96:99], a[202:203], a[26:27], v[96:99]// 000000009480: D3D70060 1D8235CA
	v_mfma_i32_16x16x32_i8 v[96:99], a[204:205], a[28:29], v[96:99]// 000000009488: D3D70060 1D8239CC
	v_mfma_i32_16x16x32_i8 v[96:99], a[206:207], a[30:31], v[96:99]// 000000009490: D3D70060 1D823DCE
	v_mfma_i32_16x16x32_i8 v[104:107], a[208:209], a[24:25], v[104:107]// 000000009498: D3D70068 1DA231D0
	buffer_load_dwordx4 a[152:155], v50, s[24:27], 0 offen     // 0000000094A0: E05C1000 80869832
	v_mfma_i32_16x16x32_i8 v[104:107], a[210:211], a[26:27], v[104:107]// 0000000094A8: D3D70068 1DA235D2
	v_mfma_i32_16x16x32_i8 v[104:107], a[212:213], a[28:29], v[104:107]// 0000000094B0: D3D70068 1DA239D4
	v_mfma_i32_16x16x32_i8 v[104:107], a[214:215], a[30:31], v[104:107]// 0000000094B8: D3D70068 1DA23DD6
	v_mfma_i32_16x16x32_i8 v[112:115], a[216:217], a[24:25], v[112:115]// 0000000094C0: D3D70070 1DC231D8
	buffer_load_dwordx4 a[156:159], v50, s[24:27], 0 offen offset:1024// 0000000094C8: E05C1400 80869C32
	buffer_load_dword v39, s[20:23], 0 offen lds               // 0000000094D0: E0511000 80050027
	s_add_u32 m0, 0x100, s48                                   // 0000000094D8: 807C30FF 00000100
	v_mfma_i32_16x16x32_i8 v[112:115], a[218:219], a[26:27], v[112:115]// 0000000094E0: D3D70070 1DC235DA
	v_mfma_i32_16x16x32_i8 v[112:115], a[220:221], a[28:29], v[112:115]// 0000000094E8: D3D70070 1DC239DC
	buffer_load_dword v40, s[20:23], 0 offen lds               // 0000000094F0: E0511000 80050028
	s_add_u32 m0, 0x200, s48                                   // 0000000094F8: 807C30FF 00000200
	v_mfma_i32_16x16x32_i8 v[112:115], a[222:223], a[30:31], v[112:115]// 000000009500: D3D70070 1DC23DDE
	buffer_load_dword v41, s[20:23], 0 offen lds               // 000000009508: E0511000 80050029
	s_add_u32 m0, 0x300, s48                                   // 000000009510: 807C30FF 00000300
	buffer_load_dword v42, s[20:23], 0 offen lds               // 000000009518: E0511000 8005002A
	s_add_u32 m0, 0, s49                                       // 000000009520: 807C3180
	s_waitcnt vmcnt(20)                                        // 000000009524: BF8C4F74
	s_barrier                                                  // 000000009528: BF8A0000
	v_mfma_i32_16x16x32_i8 v[116:119], a[32:33], a[16:17], v[116:119]// 00000000952C: D3D70074 1DD22120
	buffer_load_dwordx4 a[160:163], v43, s[84:87], 0 offen     // 000000009534: E05C1000 8095A02B
	v_mfma_i32_16x16x32_i8 v[116:119], a[34:35], a[18:19], v[116:119]// 00000000953C: D3D70074 1DD22522
	v_mfma_i32_16x16x32_i8 v[116:119], a[36:37], a[20:21], v[116:119]// 000000009544: D3D70074 1DD22924
	ds_read_b128 a[0:3], v2 offset:8448                        // 00000000954C: DBFE2100 00000002
	ds_read_b128 a[4:7], v2 offset:8512                        // 000000009554: DBFE2140 04000002
	v_mfma_i32_16x16x32_i8 v[116:119], a[38:39], a[22:23], v[116:119]// 00000000955C: D3D70074 1DD22D26
	v_mfma_i32_16x16x32_i8 v[124:127], a[40:41], a[16:17], v[124:127]// 000000009564: D3D7007C 1DF22128
	buffer_load_dwordx4 a[164:167], v43, s[84:87], 0 offen offset:1024// 00000000956C: E05C1400 8095A42B
	v_mfma_i32_16x16x32_i8 v[124:127], a[42:43], a[18:19], v[124:127]// 000000009574: D3D7007C 1DF2252A
	v_mfma_i32_16x16x32_i8 v[124:127], a[44:45], a[20:21], v[124:127]// 00000000957C: D3D7007C 1DF2292C
	ds_read_b128 a[8:11], v2 offset:8960                       // 000000009584: DBFE2300 08000002
	ds_read_b128 a[12:15], v2 offset:9024                      // 00000000958C: DBFE2340 0C000002
	v_mfma_i32_16x16x32_i8 v[124:127], a[46:47], a[22:23], v[124:127]// 000000009594: D3D7007C 1DF22D2E
	v_mfma_i32_16x16x32_i8 v[132:135], a[48:49], a[16:17], v[132:135]// 00000000959C: D3D70084 1E122130
	buffer_load_dwordx4 a[168:171], v44, s[84:87], 0 offen     // 0000000095A4: E05C1000 8095A82C
	v_mfma_i32_16x16x32_i8 v[132:135], a[50:51], a[18:19], v[132:135]// 0000000095AC: D3D70084 1E122532
	v_mfma_i32_16x16x32_i8 v[132:135], a[52:53], a[20:21], v[132:135]// 0000000095B4: D3D70084 1E122934
	v_mfma_i32_16x16x32_i8 v[132:135], a[54:55], a[22:23], v[132:135]// 0000000095BC: D3D70084 1E122D36
	v_mfma_i32_16x16x32_i8 v[140:143], a[56:57], a[16:17], v[140:143]// 0000000095C4: D3D7008C 1E322138
	buffer_load_dwordx4 a[172:175], v44, s[84:87], 0 offen offset:1024// 0000000095CC: E05C1400 8095AC2C
	v_mfma_i32_16x16x32_i8 v[140:143], a[58:59], a[18:19], v[140:143]// 0000000095D4: D3D7008C 1E32253A
	v_mfma_i32_16x16x32_i8 v[140:143], a[60:61], a[20:21], v[140:143]// 0000000095DC: D3D7008C 1E32293C
	v_mfma_i32_16x16x32_i8 v[140:143], a[62:63], a[22:23], v[140:143]// 0000000095E4: D3D7008C 1E322D3E
	v_mfma_i32_16x16x32_i8 v[148:151], a[64:65], a[16:17], v[148:151]// 0000000095EC: D3D70094 1E522140
	buffer_load_dwordx4 a[176:179], v45, s[84:87], 0 offen     // 0000000095F4: E05C1000 8095B02D
	v_mfma_i32_16x16x32_i8 v[148:151], a[66:67], a[18:19], v[148:151]// 0000000095FC: D3D70094 1E522542
	v_mfma_i32_16x16x32_i8 v[148:151], a[68:69], a[20:21], v[148:151]// 000000009604: D3D70094 1E522944
	v_mfma_i32_16x16x32_i8 v[148:151], a[70:71], a[22:23], v[148:151]// 00000000960C: D3D70094 1E522D46
	v_mfma_i32_16x16x32_i8 v[156:159], a[72:73], a[16:17], v[156:159]// 000000009614: D3D7009C 1E722148
	buffer_load_dwordx4 a[180:183], v45, s[84:87], 0 offen offset:1024// 00000000961C: E05C1400 8095B42D
	v_mfma_i32_16x16x32_i8 v[156:159], a[74:75], a[18:19], v[156:159]// 000000009624: D3D7009C 1E72254A
	v_mfma_i32_16x16x32_i8 v[156:159], a[76:77], a[20:21], v[156:159]// 00000000962C: D3D7009C 1E72294C
	v_mfma_i32_16x16x32_i8 v[156:159], a[78:79], a[22:23], v[156:159]// 000000009634: D3D7009C 1E722D4E
	v_mfma_i32_16x16x32_i8 v[164:167], a[80:81], a[16:17], v[164:167]// 00000000963C: D3D700A4 1E922150
	buffer_load_dwordx4 a[184:187], v46, s[84:87], 0 offen     // 000000009644: E05C1000 8095B82E
	v_mfma_i32_16x16x32_i8 v[164:167], a[82:83], a[18:19], v[164:167]// 00000000964C: D3D700A4 1E922552
	v_mfma_i32_16x16x32_i8 v[164:167], a[84:85], a[20:21], v[164:167]// 000000009654: D3D700A4 1E922954
	v_mfma_i32_16x16x32_i8 v[164:167], a[86:87], a[22:23], v[164:167]// 00000000965C: D3D700A4 1E922D56
	v_mfma_i32_16x16x32_i8 v[172:175], a[88:89], a[16:17], v[172:175]// 000000009664: D3D700AC 1EB22158
	buffer_load_dwordx4 a[188:191], v46, s[84:87], 0 offen offset:1024// 00000000966C: E05C1400 8095BC2E
	v_mfma_i32_16x16x32_i8 v[172:175], a[90:91], a[18:19], v[172:175]// 000000009674: D3D700AC 1EB2255A
	v_mfma_i32_16x16x32_i8 v[172:175], a[92:93], a[20:21], v[172:175]// 00000000967C: D3D700AC 1EB2295C
	v_mfma_i32_16x16x32_i8 v[172:175], a[94:95], a[22:23], v[172:175]// 000000009684: D3D700AC 1EB22D5E
	v_mfma_i32_16x16x32_i8 v[120:123], a[32:33], a[24:25], v[120:123]// 00000000968C: D3D70078 1DE23120
	buffer_load_dwordx4 a[192:195], v47, s[84:87], 0 offen     // 000000009694: E05C1000 8095C02F
	v_mfma_i32_16x16x32_i8 v[120:123], a[34:35], a[26:27], v[120:123]// 00000000969C: D3D70078 1DE23522
	v_mfma_i32_16x16x32_i8 v[120:123], a[36:37], a[28:29], v[120:123]// 0000000096A4: D3D70078 1DE23924
	v_mfma_i32_16x16x32_i8 v[120:123], a[38:39], a[30:31], v[120:123]// 0000000096AC: D3D70078 1DE23D26
	v_mfma_i32_16x16x32_i8 v[128:131], a[40:41], a[24:25], v[128:131]// 0000000096B4: D3D70080 1E023128
	buffer_load_dwordx4 a[196:199], v47, s[84:87], 0 offen offset:1024// 0000000096BC: E05C1400 8095C42F
	v_mfma_i32_16x16x32_i8 v[128:131], a[42:43], a[26:27], v[128:131]// 0000000096C4: D3D70080 1E02352A
	v_mfma_i32_16x16x32_i8 v[128:131], a[44:45], a[28:29], v[128:131]// 0000000096CC: D3D70080 1E02392C
	v_mfma_i32_16x16x32_i8 v[128:131], a[46:47], a[30:31], v[128:131]// 0000000096D4: D3D70080 1E023D2E
	v_mfma_i32_16x16x32_i8 v[136:139], a[48:49], a[24:25], v[136:139]// 0000000096DC: D3D70088 1E223130
	buffer_load_dwordx4 a[200:203], v48, s[84:87], 0 offen     // 0000000096E4: E05C1000 8095C830
	v_mfma_i32_16x16x32_i8 v[136:139], a[50:51], a[26:27], v[136:139]// 0000000096EC: D3D70088 1E223532
	v_mfma_i32_16x16x32_i8 v[136:139], a[52:53], a[28:29], v[136:139]// 0000000096F4: D3D70088 1E223934
	v_mfma_i32_16x16x32_i8 v[136:139], a[54:55], a[30:31], v[136:139]// 0000000096FC: D3D70088 1E223D36
	v_mfma_i32_16x16x32_i8 v[144:147], a[56:57], a[24:25], v[144:147]// 000000009704: D3D70090 1E423138
	buffer_load_dwordx4 a[204:207], v48, s[84:87], 0 offen offset:1024// 00000000970C: E05C1400 8095CC30
	v_mfma_i32_16x16x32_i8 v[144:147], a[58:59], a[26:27], v[144:147]// 000000009714: D3D70090 1E42353A
	v_mfma_i32_16x16x32_i8 v[144:147], a[60:61], a[28:29], v[144:147]// 00000000971C: D3D70090 1E42393C
	v_mfma_i32_16x16x32_i8 v[144:147], a[62:63], a[30:31], v[144:147]// 000000009724: D3D70090 1E423D3E
	v_mfma_i32_16x16x32_i8 v[152:155], a[64:65], a[24:25], v[152:155]// 00000000972C: D3D70098 1E623140
	buffer_load_dwordx4 a[208:211], v49, s[84:87], 0 offen     // 000000009734: E05C1000 8095D031
	v_mfma_i32_16x16x32_i8 v[152:155], a[66:67], a[26:27], v[152:155]// 00000000973C: D3D70098 1E623542
	v_mfma_i32_16x16x32_i8 v[152:155], a[68:69], a[28:29], v[152:155]// 000000009744: D3D70098 1E623944
	v_mfma_i32_16x16x32_i8 v[152:155], a[70:71], a[30:31], v[152:155]// 00000000974C: D3D70098 1E623D46
	v_mfma_i32_16x16x32_i8 v[160:163], a[72:73], a[24:25], v[160:163]// 000000009754: D3D700A0 1E823148
	buffer_load_dwordx4 a[212:215], v49, s[84:87], 0 offen offset:1024// 00000000975C: E05C1400 8095D431
	v_mfma_i32_16x16x32_i8 v[160:163], a[74:75], a[26:27], v[160:163]// 000000009764: D3D700A0 1E82354A
	v_mfma_i32_16x16x32_i8 v[160:163], a[76:77], a[28:29], v[160:163]// 00000000976C: D3D700A0 1E82394C
	v_mfma_i32_16x16x32_i8 v[160:163], a[78:79], a[30:31], v[160:163]// 000000009774: D3D700A0 1E823D4E
	v_mfma_i32_16x16x32_i8 v[168:171], a[80:81], a[24:25], v[168:171]// 00000000977C: D3D700A8 1EA23150
	buffer_load_dwordx4 a[216:219], v50, s[84:87], 0 offen     // 000000009784: E05C1000 8095D832
	s_add_u32 s60, 0x180, s80                                  // 00000000978C: 803C50FF 00000180
	s_cmp_lt_u32 s60, s81                                      // 000000009794: BF0A513C
	s_cselect_b32 s57, s57, 0                                  // 000000009798: 85398039
	v_mfma_i32_16x16x32_i8 v[168:171], a[82:83], a[26:27], v[168:171]// 00000000979C: D3D700A8 1EA23552
	s_add_u32 s60, 0x100, s80                                  // 0000000097A4: 803C50FF 00000100
	s_cmp_lt_u32 s60, s81                                      // 0000000097AC: BF0A513C
	s_cselect_b32 s58, s58, 0                                  // 0000000097B0: 853A803A
	v_mfma_i32_16x16x32_i8 v[168:171], a[84:85], a[28:29], v[168:171]// 0000000097B4: D3D700A8 1EA23954
	s_add_u32 s60, 0x100, s80                                  // 0000000097BC: 803C50FF 00000100
	s_cmp_lt_u32 s60, s81                                      // 0000000097C4: BF0A513C
	s_cselect_b32 s83, s83, 0                                  // 0000000097C8: 85538053
	v_mfma_i32_16x16x32_i8 v[168:171], a[86:87], a[30:31], v[168:171]// 0000000097CC: D3D700A8 1EA23D56
	s_add_u32 s24, s58, s24                                    // 0000000097D4: 8018183A
	s_addc_u32 s25, 0, s25                                     // 0000000097D8: 82191980
	v_mfma_i32_16x16x32_i8 v[176:179], a[88:89], a[24:25], v[176:179]// 0000000097DC: D3D700B0 1EC23158
	buffer_load_dwordx4 a[220:223], v50, s[84:87], 0 offen offset:1024// 0000000097E4: E05C1400 8095DC32
	s_add_u32 s20, s57, s20                                    // 0000000097EC: 80141439
	s_addc_u32 s21, 0, s21                                     // 0000000097F0: 82151580
	v_mfma_i32_16x16x32_i8 v[176:179], a[90:91], a[26:27], v[176:179]// 0000000097F4: D3D700B0 1EC2355A
	s_add_u32 s84, s83, s84                                    // 0000000097FC: 80545453
	s_addc_u32 s85, 0, s85                                     // 000000009800: 82555580
	v_mfma_i32_16x16x32_i8 v[176:179], a[92:93], a[28:29], v[176:179]// 000000009804: D3D700B0 1EC2395C
	v_mfma_i32_16x16x32_i8 v[176:179], a[94:95], a[30:31], v[176:179]// 00000000980C: D3D700B0 1EC23D5E
	s_addk_i32 s80, 0x80                                       // 000000009814: B7500080
	s_cmp_lt_i32 s80, s81                                      // 000000009818: BF045150
	s_cbranch_scc0 label_2148                                  // 00000000981C: BF8405BD
	s_waitcnt vmcnt(20) lgkmcnt(0)                             // 000000009820: BF8C4074
	v_mfma_i32_16x16x32_i8 v[52:55], a[96:97], a[0:1], v[52:55]// 000000009824: D3D70034 1CD20160
	buffer_load_dwordx4 a[32:35], v43, s[24:27], 0 offen       // 00000000982C: E05C1000 8086202B
	v_mfma_i32_16x16x32_i8 v[52:55], a[98:99], a[2:3], v[52:55]// 000000009834: D3D70034 1CD20562
	v_mfma_i32_16x16x32_i8 v[52:55], a[100:101], a[4:5], v[52:55]// 00000000983C: D3D70034 1CD20964
	v_mfma_i32_16x16x32_i8 v[52:55], a[102:103], a[6:7], v[52:55]// 000000009844: D3D70034 1CD20D66
	v_mfma_i32_16x16x32_i8 v[60:63], a[104:105], a[0:1], v[60:63]// 00000000984C: D3D7003C 1CF20168
	buffer_load_dwordx4 a[36:39], v43, s[24:27], 0 offen offset:1024// 000000009854: E05C1400 8086242B
	v_mfma_i32_16x16x32_i8 v[60:63], a[106:107], a[2:3], v[60:63]// 00000000985C: D3D7003C 1CF2056A
	v_mfma_i32_16x16x32_i8 v[60:63], a[108:109], a[4:5], v[60:63]// 000000009864: D3D7003C 1CF2096C
	v_mfma_i32_16x16x32_i8 v[60:63], a[110:111], a[6:7], v[60:63]// 00000000986C: D3D7003C 1CF20D6E
	v_mfma_i32_16x16x32_i8 v[68:71], a[112:113], a[0:1], v[68:71]// 000000009874: D3D70044 1D120170
	buffer_load_dwordx4 a[40:43], v44, s[24:27], 0 offen       // 00000000987C: E05C1000 8086282C
	v_mfma_i32_16x16x32_i8 v[68:71], a[114:115], a[2:3], v[68:71]// 000000009884: D3D70044 1D120572
	v_mfma_i32_16x16x32_i8 v[68:71], a[116:117], a[4:5], v[68:71]// 00000000988C: D3D70044 1D120974
	v_mfma_i32_16x16x32_i8 v[68:71], a[118:119], a[6:7], v[68:71]// 000000009894: D3D70044 1D120D76
	v_mfma_i32_16x16x32_i8 v[76:79], a[120:121], a[0:1], v[76:79]// 00000000989C: D3D7004C 1D320178
	buffer_load_dwordx4 a[44:47], v44, s[24:27], 0 offen offset:1024// 0000000098A4: E05C1400 80862C2C
	v_mfma_i32_16x16x32_i8 v[76:79], a[122:123], a[2:3], v[76:79]// 0000000098AC: D3D7004C 1D32057A
	v_mfma_i32_16x16x32_i8 v[76:79], a[124:125], a[4:5], v[76:79]// 0000000098B4: D3D7004C 1D32097C
	v_mfma_i32_16x16x32_i8 v[76:79], a[126:127], a[6:7], v[76:79]// 0000000098BC: D3D7004C 1D320D7E
	v_mfma_i32_16x16x32_i8 v[84:87], a[128:129], a[0:1], v[84:87]// 0000000098C4: D3D70054 1D520180
	buffer_load_dwordx4 a[48:51], v45, s[24:27], 0 offen       // 0000000098CC: E05C1000 8086302D
	v_mfma_i32_16x16x32_i8 v[84:87], a[130:131], a[2:3], v[84:87]// 0000000098D4: D3D70054 1D520582
	v_mfma_i32_16x16x32_i8 v[84:87], a[132:133], a[4:5], v[84:87]// 0000000098DC: D3D70054 1D520984
	v_mfma_i32_16x16x32_i8 v[84:87], a[134:135], a[6:7], v[84:87]// 0000000098E4: D3D70054 1D520D86
	v_mfma_i32_16x16x32_i8 v[92:95], a[136:137], a[0:1], v[92:95]// 0000000098EC: D3D7005C 1D720188
	buffer_load_dwordx4 a[52:55], v45, s[24:27], 0 offen offset:1024// 0000000098F4: E05C1400 8086342D
	v_mfma_i32_16x16x32_i8 v[92:95], a[138:139], a[2:3], v[92:95]// 0000000098FC: D3D7005C 1D72058A
	v_mfma_i32_16x16x32_i8 v[92:95], a[140:141], a[4:5], v[92:95]// 000000009904: D3D7005C 1D72098C
	v_mfma_i32_16x16x32_i8 v[92:95], a[142:143], a[6:7], v[92:95]// 00000000990C: D3D7005C 1D720D8E
	v_mfma_i32_16x16x32_i8 v[100:103], a[144:145], a[0:1], v[100:103]// 000000009914: D3D70064 1D920190
	buffer_load_dwordx4 a[56:59], v46, s[24:27], 0 offen       // 00000000991C: E05C1000 8086382E
	v_mfma_i32_16x16x32_i8 v[100:103], a[146:147], a[2:3], v[100:103]// 000000009924: D3D70064 1D920592
	v_mfma_i32_16x16x32_i8 v[100:103], a[148:149], a[4:5], v[100:103]// 00000000992C: D3D70064 1D920994
	v_mfma_i32_16x16x32_i8 v[100:103], a[150:151], a[6:7], v[100:103]// 000000009934: D3D70064 1D920D96
	v_mfma_i32_16x16x32_i8 v[108:111], a[152:153], a[0:1], v[108:111]// 00000000993C: D3D7006C 1DB20198
	buffer_load_dwordx4 a[60:63], v46, s[24:27], 0 offen offset:1024// 000000009944: E05C1400 80863C2E
	v_mfma_i32_16x16x32_i8 v[108:111], a[154:155], a[2:3], v[108:111]// 00000000994C: D3D7006C 1DB2059A
	v_mfma_i32_16x16x32_i8 v[108:111], a[156:157], a[4:5], v[108:111]// 000000009954: D3D7006C 1DB2099C
	v_mfma_i32_16x16x32_i8 v[108:111], a[158:159], a[6:7], v[108:111]// 00000000995C: D3D7006C 1DB20D9E
	v_mfma_i32_16x16x32_i8 v[56:59], a[96:97], a[8:9], v[56:59]// 000000009964: D3D70038 1CE21160
	buffer_load_dwordx4 a[64:67], v47, s[24:27], 0 offen       // 00000000996C: E05C1000 8086402F
	v_mfma_i32_16x16x32_i8 v[56:59], a[98:99], a[10:11], v[56:59]// 000000009974: D3D70038 1CE21562
	v_mfma_i32_16x16x32_i8 v[56:59], a[100:101], a[12:13], v[56:59]// 00000000997C: D3D70038 1CE21964
	v_mfma_i32_16x16x32_i8 v[56:59], a[102:103], a[14:15], v[56:59]// 000000009984: D3D70038 1CE21D66
	v_mfma_i32_16x16x32_i8 v[64:67], a[104:105], a[8:9], v[64:67]// 00000000998C: D3D70040 1D021168
	buffer_load_dwordx4 a[68:71], v47, s[24:27], 0 offen offset:1024// 000000009994: E05C1400 8086442F
	v_mfma_i32_16x16x32_i8 v[64:67], a[106:107], a[10:11], v[64:67]// 00000000999C: D3D70040 1D02156A
	v_mfma_i32_16x16x32_i8 v[64:67], a[108:109], a[12:13], v[64:67]// 0000000099A4: D3D70040 1D02196C
	v_mfma_i32_16x16x32_i8 v[64:67], a[110:111], a[14:15], v[64:67]// 0000000099AC: D3D70040 1D021D6E
	v_mfma_i32_16x16x32_i8 v[72:75], a[112:113], a[8:9], v[72:75]// 0000000099B4: D3D70048 1D221170
	buffer_load_dwordx4 a[72:75], v48, s[24:27], 0 offen       // 0000000099BC: E05C1000 80864830
	v_mfma_i32_16x16x32_i8 v[72:75], a[114:115], a[10:11], v[72:75]// 0000000099C4: D3D70048 1D221572
	v_mfma_i32_16x16x32_i8 v[72:75], a[116:117], a[12:13], v[72:75]// 0000000099CC: D3D70048 1D221974
	v_mfma_i32_16x16x32_i8 v[72:75], a[118:119], a[14:15], v[72:75]// 0000000099D4: D3D70048 1D221D76
	v_mfma_i32_16x16x32_i8 v[80:83], a[120:121], a[8:9], v[80:83]// 0000000099DC: D3D70050 1D421178
	buffer_load_dwordx4 a[76:79], v48, s[24:27], 0 offen offset:1024// 0000000099E4: E05C1400 80864C30
	v_mfma_i32_16x16x32_i8 v[80:83], a[122:123], a[10:11], v[80:83]// 0000000099EC: D3D70050 1D42157A
	v_mfma_i32_16x16x32_i8 v[80:83], a[124:125], a[12:13], v[80:83]// 0000000099F4: D3D70050 1D42197C
	v_mfma_i32_16x16x32_i8 v[80:83], a[126:127], a[14:15], v[80:83]// 0000000099FC: D3D70050 1D421D7E
	v_mfma_i32_16x16x32_i8 v[88:91], a[128:129], a[8:9], v[88:91]// 000000009A04: D3D70058 1D621180
	buffer_load_dwordx4 a[80:83], v49, s[24:27], 0 offen       // 000000009A0C: E05C1000 80865031
	v_mfma_i32_16x16x32_i8 v[88:91], a[130:131], a[10:11], v[88:91]// 000000009A14: D3D70058 1D621582
	v_mfma_i32_16x16x32_i8 v[88:91], a[132:133], a[12:13], v[88:91]// 000000009A1C: D3D70058 1D621984
	v_mfma_i32_16x16x32_i8 v[88:91], a[134:135], a[14:15], v[88:91]// 000000009A24: D3D70058 1D621D86
	v_mfma_i32_16x16x32_i8 v[96:99], a[136:137], a[8:9], v[96:99]// 000000009A2C: D3D70060 1D821188
	buffer_load_dwordx4 a[84:87], v49, s[24:27], 0 offen offset:1024// 000000009A34: E05C1400 80865431
	v_mfma_i32_16x16x32_i8 v[96:99], a[138:139], a[10:11], v[96:99]// 000000009A3C: D3D70060 1D82158A
	v_mfma_i32_16x16x32_i8 v[96:99], a[140:141], a[12:13], v[96:99]// 000000009A44: D3D70060 1D82198C
	v_mfma_i32_16x16x32_i8 v[96:99], a[142:143], a[14:15], v[96:99]// 000000009A4C: D3D70060 1D821D8E
	v_mfma_i32_16x16x32_i8 v[104:107], a[144:145], a[8:9], v[104:107]// 000000009A54: D3D70068 1DA21190
	buffer_load_dwordx4 a[88:91], v50, s[24:27], 0 offen       // 000000009A5C: E05C1000 80865832
	v_mfma_i32_16x16x32_i8 v[104:107], a[146:147], a[10:11], v[104:107]// 000000009A64: D3D70068 1DA21592
	v_mfma_i32_16x16x32_i8 v[104:107], a[148:149], a[12:13], v[104:107]// 000000009A6C: D3D70068 1DA21994
	v_mfma_i32_16x16x32_i8 v[104:107], a[150:151], a[14:15], v[104:107]// 000000009A74: D3D70068 1DA21D96
	v_mfma_i32_16x16x32_i8 v[112:115], a[152:153], a[8:9], v[112:115]// 000000009A7C: D3D70070 1DC21198
	buffer_load_dwordx4 a[92:95], v50, s[24:27], 0 offen offset:1024// 000000009A84: E05C1400 80865C32
	buffer_load_dword v39, s[20:23], 0 offen lds               // 000000009A8C: E0511000 80050027
	s_add_u32 m0, 0x100, s49                                   // 000000009A94: 807C31FF 00000100
	v_mfma_i32_16x16x32_i8 v[112:115], a[154:155], a[10:11], v[112:115]// 000000009A9C: D3D70070 1DC2159A
	v_mfma_i32_16x16x32_i8 v[112:115], a[156:157], a[12:13], v[112:115]// 000000009AA4: D3D70070 1DC2199C
	buffer_load_dword v40, s[20:23], 0 offen lds               // 000000009AAC: E0511000 80050028
	s_add_u32 m0, 0x200, s49                                   // 000000009AB4: 807C31FF 00000200
	v_mfma_i32_16x16x32_i8 v[112:115], a[158:159], a[14:15], v[112:115]// 000000009ABC: D3D70070 1DC21D9E
	buffer_load_dword v41, s[20:23], 0 offen lds               // 000000009AC4: E0511000 80050029
	s_add_u32 m0, 0x300, s49                                   // 000000009ACC: 807C31FF 00000300
	buffer_load_dword v42, s[20:23], 0 offen lds               // 000000009AD4: E0511000 8005002A
	s_add_u32 m0, 0, s50                                       // 000000009ADC: 807C3280
	s_waitcnt vmcnt(20)                                        // 000000009AE0: BF8C4F74
	s_barrier                                                  // 000000009AE4: BF8A0000
	v_mfma_i32_16x16x32_i8 v[116:119], a[160:161], a[0:1], v[116:119]// 000000009AE8: D3D70074 1DD201A0
	buffer_load_dwordx4 a[96:99], v43, s[84:87], 0 offen       // 000000009AF0: E05C1000 8095602B
	v_mfma_i32_16x16x32_i8 v[116:119], a[162:163], a[2:3], v[116:119]// 000000009AF8: D3D70074 1DD205A2
	v_mfma_i32_16x16x32_i8 v[116:119], a[164:165], a[4:5], v[116:119]// 000000009B00: D3D70074 1DD209A4
	ds_read_b128 a[16:19], v2                                  // 000000009B08: DBFE0000 10000002
	ds_read_b128 a[20:23], v2 offset:64                        // 000000009B10: DBFE0040 14000002
	v_mfma_i32_16x16x32_i8 v[116:119], a[166:167], a[6:7], v[116:119]// 000000009B18: D3D70074 1DD20DA6
	v_mfma_i32_16x16x32_i8 v[124:127], a[168:169], a[0:1], v[124:127]// 000000009B20: D3D7007C 1DF201A8
	buffer_load_dwordx4 a[100:103], v43, s[84:87], 0 offen offset:1024// 000000009B28: E05C1400 8095642B
	v_mfma_i32_16x16x32_i8 v[124:127], a[170:171], a[2:3], v[124:127]// 000000009B30: D3D7007C 1DF205AA
	v_mfma_i32_16x16x32_i8 v[124:127], a[172:173], a[4:5], v[124:127]// 000000009B38: D3D7007C 1DF209AC
	ds_read_b128 a[24:27], v2 offset:512                       // 000000009B40: DBFE0200 18000002
	ds_read_b128 a[28:31], v2 offset:576                       // 000000009B48: DBFE0240 1C000002
	v_mfma_i32_16x16x32_i8 v[124:127], a[174:175], a[6:7], v[124:127]// 000000009B50: D3D7007C 1DF20DAE
	v_mfma_i32_16x16x32_i8 v[132:135], a[176:177], a[0:1], v[132:135]// 000000009B58: D3D70084 1E1201B0
	buffer_load_dwordx4 a[104:107], v44, s[84:87], 0 offen     // 000000009B60: E05C1000 8095682C
	v_mfma_i32_16x16x32_i8 v[132:135], a[178:179], a[2:3], v[132:135]// 000000009B68: D3D70084 1E1205B2
	v_mfma_i32_16x16x32_i8 v[132:135], a[180:181], a[4:5], v[132:135]// 000000009B70: D3D70084 1E1209B4
	v_mfma_i32_16x16x32_i8 v[132:135], a[182:183], a[6:7], v[132:135]// 000000009B78: D3D70084 1E120DB6
	v_mfma_i32_16x16x32_i8 v[140:143], a[184:185], a[0:1], v[140:143]// 000000009B80: D3D7008C 1E3201B8
	buffer_load_dwordx4 a[108:111], v44, s[84:87], 0 offen offset:1024// 000000009B88: E05C1400 80956C2C
	v_mfma_i32_16x16x32_i8 v[140:143], a[186:187], a[2:3], v[140:143]// 000000009B90: D3D7008C 1E3205BA
	v_mfma_i32_16x16x32_i8 v[140:143], a[188:189], a[4:5], v[140:143]// 000000009B98: D3D7008C 1E3209BC
	v_mfma_i32_16x16x32_i8 v[140:143], a[190:191], a[6:7], v[140:143]// 000000009BA0: D3D7008C 1E320DBE
	v_mfma_i32_16x16x32_i8 v[148:151], a[192:193], a[0:1], v[148:151]// 000000009BA8: D3D70094 1E5201C0
	buffer_load_dwordx4 a[112:115], v45, s[84:87], 0 offen     // 000000009BB0: E05C1000 8095702D
	v_mfma_i32_16x16x32_i8 v[148:151], a[194:195], a[2:3], v[148:151]// 000000009BB8: D3D70094 1E5205C2
	v_mfma_i32_16x16x32_i8 v[148:151], a[196:197], a[4:5], v[148:151]// 000000009BC0: D3D70094 1E5209C4
	v_mfma_i32_16x16x32_i8 v[148:151], a[198:199], a[6:7], v[148:151]// 000000009BC8: D3D70094 1E520DC6
	v_mfma_i32_16x16x32_i8 v[156:159], a[200:201], a[0:1], v[156:159]// 000000009BD0: D3D7009C 1E7201C8
	buffer_load_dwordx4 a[116:119], v45, s[84:87], 0 offen offset:1024// 000000009BD8: E05C1400 8095742D
	v_mfma_i32_16x16x32_i8 v[156:159], a[202:203], a[2:3], v[156:159]// 000000009BE0: D3D7009C 1E7205CA
	v_mfma_i32_16x16x32_i8 v[156:159], a[204:205], a[4:5], v[156:159]// 000000009BE8: D3D7009C 1E7209CC
	v_mfma_i32_16x16x32_i8 v[156:159], a[206:207], a[6:7], v[156:159]// 000000009BF0: D3D7009C 1E720DCE
	v_mfma_i32_16x16x32_i8 v[164:167], a[208:209], a[0:1], v[164:167]// 000000009BF8: D3D700A4 1E9201D0
	buffer_load_dwordx4 a[120:123], v46, s[84:87], 0 offen     // 000000009C00: E05C1000 8095782E
	v_mfma_i32_16x16x32_i8 v[164:167], a[210:211], a[2:3], v[164:167]// 000000009C08: D3D700A4 1E9205D2
	v_mfma_i32_16x16x32_i8 v[164:167], a[212:213], a[4:5], v[164:167]// 000000009C10: D3D700A4 1E9209D4
	v_mfma_i32_16x16x32_i8 v[164:167], a[214:215], a[6:7], v[164:167]// 000000009C18: D3D700A4 1E920DD6
	v_mfma_i32_16x16x32_i8 v[172:175], a[216:217], a[0:1], v[172:175]// 000000009C20: D3D700AC 1EB201D8
	buffer_load_dwordx4 a[124:127], v46, s[84:87], 0 offen offset:1024// 000000009C28: E05C1400 80957C2E
	v_mfma_i32_16x16x32_i8 v[172:175], a[218:219], a[2:3], v[172:175]// 000000009C30: D3D700AC 1EB205DA
	v_mfma_i32_16x16x32_i8 v[172:175], a[220:221], a[4:5], v[172:175]// 000000009C38: D3D700AC 1EB209DC
	v_mfma_i32_16x16x32_i8 v[172:175], a[222:223], a[6:7], v[172:175]// 000000009C40: D3D700AC 1EB20DDE
	v_mfma_i32_16x16x32_i8 v[120:123], a[160:161], a[8:9], v[120:123]// 000000009C48: D3D70078 1DE211A0
	buffer_load_dwordx4 a[128:131], v47, s[84:87], 0 offen     // 000000009C50: E05C1000 8095802F
	v_mfma_i32_16x16x32_i8 v[120:123], a[162:163], a[10:11], v[120:123]// 000000009C58: D3D70078 1DE215A2
	v_mfma_i32_16x16x32_i8 v[120:123], a[164:165], a[12:13], v[120:123]// 000000009C60: D3D70078 1DE219A4
	v_mfma_i32_16x16x32_i8 v[120:123], a[166:167], a[14:15], v[120:123]// 000000009C68: D3D70078 1DE21DA6
	v_mfma_i32_16x16x32_i8 v[128:131], a[168:169], a[8:9], v[128:131]// 000000009C70: D3D70080 1E0211A8
	buffer_load_dwordx4 a[132:135], v47, s[84:87], 0 offen offset:1024// 000000009C78: E05C1400 8095842F
	v_mfma_i32_16x16x32_i8 v[128:131], a[170:171], a[10:11], v[128:131]// 000000009C80: D3D70080 1E0215AA
	v_mfma_i32_16x16x32_i8 v[128:131], a[172:173], a[12:13], v[128:131]// 000000009C88: D3D70080 1E0219AC
	v_mfma_i32_16x16x32_i8 v[128:131], a[174:175], a[14:15], v[128:131]// 000000009C90: D3D70080 1E021DAE
	v_mfma_i32_16x16x32_i8 v[136:139], a[176:177], a[8:9], v[136:139]// 000000009C98: D3D70088 1E2211B0
	buffer_load_dwordx4 a[136:139], v48, s[84:87], 0 offen     // 000000009CA0: E05C1000 80958830
	v_mfma_i32_16x16x32_i8 v[136:139], a[178:179], a[10:11], v[136:139]// 000000009CA8: D3D70088 1E2215B2
	v_mfma_i32_16x16x32_i8 v[136:139], a[180:181], a[12:13], v[136:139]// 000000009CB0: D3D70088 1E2219B4
	v_mfma_i32_16x16x32_i8 v[136:139], a[182:183], a[14:15], v[136:139]// 000000009CB8: D3D70088 1E221DB6
	v_mfma_i32_16x16x32_i8 v[144:147], a[184:185], a[8:9], v[144:147]// 000000009CC0: D3D70090 1E4211B8
	buffer_load_dwordx4 a[140:143], v48, s[84:87], 0 offen offset:1024// 000000009CC8: E05C1400 80958C30
	v_mfma_i32_16x16x32_i8 v[144:147], a[186:187], a[10:11], v[144:147]// 000000009CD0: D3D70090 1E4215BA
	v_mfma_i32_16x16x32_i8 v[144:147], a[188:189], a[12:13], v[144:147]// 000000009CD8: D3D70090 1E4219BC
	v_mfma_i32_16x16x32_i8 v[144:147], a[190:191], a[14:15], v[144:147]// 000000009CE0: D3D70090 1E421DBE
	v_mfma_i32_16x16x32_i8 v[152:155], a[192:193], a[8:9], v[152:155]// 000000009CE8: D3D70098 1E6211C0
	buffer_load_dwordx4 a[144:147], v49, s[84:87], 0 offen     // 000000009CF0: E05C1000 80959031
	v_mfma_i32_16x16x32_i8 v[152:155], a[194:195], a[10:11], v[152:155]// 000000009CF8: D3D70098 1E6215C2
	v_mfma_i32_16x16x32_i8 v[152:155], a[196:197], a[12:13], v[152:155]// 000000009D00: D3D70098 1E6219C4
	v_mfma_i32_16x16x32_i8 v[152:155], a[198:199], a[14:15], v[152:155]// 000000009D08: D3D70098 1E621DC6
	v_mfma_i32_16x16x32_i8 v[160:163], a[200:201], a[8:9], v[160:163]// 000000009D10: D3D700A0 1E8211C8
	buffer_load_dwordx4 a[148:151], v49, s[84:87], 0 offen offset:1024// 000000009D18: E05C1400 80959431
	v_mfma_i32_16x16x32_i8 v[160:163], a[202:203], a[10:11], v[160:163]// 000000009D20: D3D700A0 1E8215CA
	v_mfma_i32_16x16x32_i8 v[160:163], a[204:205], a[12:13], v[160:163]// 000000009D28: D3D700A0 1E8219CC
	v_mfma_i32_16x16x32_i8 v[160:163], a[206:207], a[14:15], v[160:163]// 000000009D30: D3D700A0 1E821DCE
	v_mfma_i32_16x16x32_i8 v[168:171], a[208:209], a[8:9], v[168:171]// 000000009D38: D3D700A8 1EA211D0
	buffer_load_dwordx4 a[152:155], v50, s[84:87], 0 offen     // 000000009D40: E05C1000 80959832
	s_add_u32 s60, 0x180, s80                                  // 000000009D48: 803C50FF 00000180
	s_cmp_lt_u32 s60, s81                                      // 000000009D50: BF0A513C
	s_cselect_b32 s57, s57, 0                                  // 000000009D54: 85398039
	v_mfma_i32_16x16x32_i8 v[168:171], a[210:211], a[10:11], v[168:171]// 000000009D58: D3D700A8 1EA215D2
	s_add_u32 s60, 0x100, s80                                  // 000000009D60: 803C50FF 00000100
	s_cmp_lt_u32 s60, s81                                      // 000000009D68: BF0A513C
	s_cselect_b32 s58, s58, 0                                  // 000000009D6C: 853A803A
	v_mfma_i32_16x16x32_i8 v[168:171], a[212:213], a[12:13], v[168:171]// 000000009D70: D3D700A8 1EA219D4
	s_add_u32 s60, 0x100, s80                                  // 000000009D78: 803C50FF 00000100
	s_cmp_lt_u32 s60, s81                                      // 000000009D80: BF0A513C
	s_cselect_b32 s83, s83, 0                                  // 000000009D84: 85538053
	v_mfma_i32_16x16x32_i8 v[168:171], a[214:215], a[14:15], v[168:171]// 000000009D88: D3D700A8 1EA21DD6
	s_add_u32 s24, s58, s24                                    // 000000009D90: 8018183A
	s_addc_u32 s25, 0, s25                                     // 000000009D94: 82191980
	v_mfma_i32_16x16x32_i8 v[176:179], a[216:217], a[8:9], v[176:179]// 000000009D98: D3D700B0 1EC211D8
	buffer_load_dwordx4 a[156:159], v50, s[84:87], 0 offen offset:1024// 000000009DA0: E05C1400 80959C32
	s_add_u32 s20, s57, s20                                    // 000000009DA8: 80141439
	s_addc_u32 s21, 0, s21                                     // 000000009DAC: 82151580
	v_mfma_i32_16x16x32_i8 v[176:179], a[218:219], a[10:11], v[176:179]// 000000009DB0: D3D700B0 1EC215DA
	s_add_u32 s84, s83, s84                                    // 000000009DB8: 80545453
	s_addc_u32 s85, 0, s85                                     // 000000009DBC: 82555580
	v_mfma_i32_16x16x32_i8 v[176:179], a[220:221], a[12:13], v[176:179]// 000000009DC0: D3D700B0 1EC219DC
	v_mfma_i32_16x16x32_i8 v[176:179], a[222:223], a[14:15], v[176:179]// 000000009DC8: D3D700B0 1EC21DDE
	s_addk_i32 s80, 0x80                                       // 000000009DD0: B7500080
	s_cmp_lt_i32 s80, s81                                      // 000000009DD4: BF045150
	s_cbranch_scc0 label_2148                                  // 000000009DD8: BF84044E
	s_waitcnt vmcnt(20) lgkmcnt(0)                             // 000000009DDC: BF8C4074
	v_mfma_i32_16x16x32_i8 v[52:55], a[32:33], a[16:17], v[52:55]// 000000009DE0: D3D70034 1CD22120
	buffer_load_dwordx4 a[160:163], v43, s[24:27], 0 offen     // 000000009DE8: E05C1000 8086A02B
	v_mfma_i32_16x16x32_i8 v[52:55], a[34:35], a[18:19], v[52:55]// 000000009DF0: D3D70034 1CD22522
	v_mfma_i32_16x16x32_i8 v[52:55], a[36:37], a[20:21], v[52:55]// 000000009DF8: D3D70034 1CD22924
	v_mfma_i32_16x16x32_i8 v[52:55], a[38:39], a[22:23], v[52:55]// 000000009E00: D3D70034 1CD22D26
	v_mfma_i32_16x16x32_i8 v[60:63], a[40:41], a[16:17], v[60:63]// 000000009E08: D3D7003C 1CF22128
	buffer_load_dwordx4 a[164:167], v43, s[24:27], 0 offen offset:1024// 000000009E10: E05C1400 8086A42B
	v_mfma_i32_16x16x32_i8 v[60:63], a[42:43], a[18:19], v[60:63]// 000000009E18: D3D7003C 1CF2252A
	v_mfma_i32_16x16x32_i8 v[60:63], a[44:45], a[20:21], v[60:63]// 000000009E20: D3D7003C 1CF2292C
	v_mfma_i32_16x16x32_i8 v[60:63], a[46:47], a[22:23], v[60:63]// 000000009E28: D3D7003C 1CF22D2E
	v_mfma_i32_16x16x32_i8 v[68:71], a[48:49], a[16:17], v[68:71]// 000000009E30: D3D70044 1D122130
	buffer_load_dwordx4 a[168:171], v44, s[24:27], 0 offen     // 000000009E38: E05C1000 8086A82C
	v_mfma_i32_16x16x32_i8 v[68:71], a[50:51], a[18:19], v[68:71]// 000000009E40: D3D70044 1D122532
	v_mfma_i32_16x16x32_i8 v[68:71], a[52:53], a[20:21], v[68:71]// 000000009E48: D3D70044 1D122934
	v_mfma_i32_16x16x32_i8 v[68:71], a[54:55], a[22:23], v[68:71]// 000000009E50: D3D70044 1D122D36
	v_mfma_i32_16x16x32_i8 v[76:79], a[56:57], a[16:17], v[76:79]// 000000009E58: D3D7004C 1D322138
	buffer_load_dwordx4 a[172:175], v44, s[24:27], 0 offen offset:1024// 000000009E60: E05C1400 8086AC2C
	v_mfma_i32_16x16x32_i8 v[76:79], a[58:59], a[18:19], v[76:79]// 000000009E68: D3D7004C 1D32253A
	v_mfma_i32_16x16x32_i8 v[76:79], a[60:61], a[20:21], v[76:79]// 000000009E70: D3D7004C 1D32293C
	v_mfma_i32_16x16x32_i8 v[76:79], a[62:63], a[22:23], v[76:79]// 000000009E78: D3D7004C 1D322D3E
	v_mfma_i32_16x16x32_i8 v[84:87], a[64:65], a[16:17], v[84:87]// 000000009E80: D3D70054 1D522140
	buffer_load_dwordx4 a[176:179], v45, s[24:27], 0 offen     // 000000009E88: E05C1000 8086B02D
	v_mfma_i32_16x16x32_i8 v[84:87], a[66:67], a[18:19], v[84:87]// 000000009E90: D3D70054 1D522542
	v_mfma_i32_16x16x32_i8 v[84:87], a[68:69], a[20:21], v[84:87]// 000000009E98: D3D70054 1D522944
	v_mfma_i32_16x16x32_i8 v[84:87], a[70:71], a[22:23], v[84:87]// 000000009EA0: D3D70054 1D522D46
	v_mfma_i32_16x16x32_i8 v[92:95], a[72:73], a[16:17], v[92:95]// 000000009EA8: D3D7005C 1D722148
	buffer_load_dwordx4 a[180:183], v45, s[24:27], 0 offen offset:1024// 000000009EB0: E05C1400 8086B42D
	v_mfma_i32_16x16x32_i8 v[92:95], a[74:75], a[18:19], v[92:95]// 000000009EB8: D3D7005C 1D72254A
	v_mfma_i32_16x16x32_i8 v[92:95], a[76:77], a[20:21], v[92:95]// 000000009EC0: D3D7005C 1D72294C
	v_mfma_i32_16x16x32_i8 v[92:95], a[78:79], a[22:23], v[92:95]// 000000009EC8: D3D7005C 1D722D4E
	v_mfma_i32_16x16x32_i8 v[100:103], a[80:81], a[16:17], v[100:103]// 000000009ED0: D3D70064 1D922150
	buffer_load_dwordx4 a[184:187], v46, s[24:27], 0 offen     // 000000009ED8: E05C1000 8086B82E
	v_mfma_i32_16x16x32_i8 v[100:103], a[82:83], a[18:19], v[100:103]// 000000009EE0: D3D70064 1D922552
	v_mfma_i32_16x16x32_i8 v[100:103], a[84:85], a[20:21], v[100:103]// 000000009EE8: D3D70064 1D922954
	v_mfma_i32_16x16x32_i8 v[100:103], a[86:87], a[22:23], v[100:103]// 000000009EF0: D3D70064 1D922D56
	v_mfma_i32_16x16x32_i8 v[108:111], a[88:89], a[16:17], v[108:111]// 000000009EF8: D3D7006C 1DB22158
	buffer_load_dwordx4 a[188:191], v46, s[24:27], 0 offen offset:1024// 000000009F00: E05C1400 8086BC2E
	v_mfma_i32_16x16x32_i8 v[108:111], a[90:91], a[18:19], v[108:111]// 000000009F08: D3D7006C 1DB2255A
	v_mfma_i32_16x16x32_i8 v[108:111], a[92:93], a[20:21], v[108:111]// 000000009F10: D3D7006C 1DB2295C
	v_mfma_i32_16x16x32_i8 v[108:111], a[94:95], a[22:23], v[108:111]// 000000009F18: D3D7006C 1DB22D5E
	v_mfma_i32_16x16x32_i8 v[56:59], a[32:33], a[24:25], v[56:59]// 000000009F20: D3D70038 1CE23120
	buffer_load_dwordx4 a[192:195], v47, s[24:27], 0 offen     // 000000009F28: E05C1000 8086C02F
	v_mfma_i32_16x16x32_i8 v[56:59], a[34:35], a[26:27], v[56:59]// 000000009F30: D3D70038 1CE23522
	v_mfma_i32_16x16x32_i8 v[56:59], a[36:37], a[28:29], v[56:59]// 000000009F38: D3D70038 1CE23924
	v_mfma_i32_16x16x32_i8 v[56:59], a[38:39], a[30:31], v[56:59]// 000000009F40: D3D70038 1CE23D26
	v_mfma_i32_16x16x32_i8 v[64:67], a[40:41], a[24:25], v[64:67]// 000000009F48: D3D70040 1D023128
	buffer_load_dwordx4 a[196:199], v47, s[24:27], 0 offen offset:1024// 000000009F50: E05C1400 8086C42F
	v_mfma_i32_16x16x32_i8 v[64:67], a[42:43], a[26:27], v[64:67]// 000000009F58: D3D70040 1D02352A
	v_mfma_i32_16x16x32_i8 v[64:67], a[44:45], a[28:29], v[64:67]// 000000009F60: D3D70040 1D02392C
	v_mfma_i32_16x16x32_i8 v[64:67], a[46:47], a[30:31], v[64:67]// 000000009F68: D3D70040 1D023D2E
	v_mfma_i32_16x16x32_i8 v[72:75], a[48:49], a[24:25], v[72:75]// 000000009F70: D3D70048 1D223130
	buffer_load_dwordx4 a[200:203], v48, s[24:27], 0 offen     // 000000009F78: E05C1000 8086C830
	v_mfma_i32_16x16x32_i8 v[72:75], a[50:51], a[26:27], v[72:75]// 000000009F80: D3D70048 1D223532
	v_mfma_i32_16x16x32_i8 v[72:75], a[52:53], a[28:29], v[72:75]// 000000009F88: D3D70048 1D223934
	v_mfma_i32_16x16x32_i8 v[72:75], a[54:55], a[30:31], v[72:75]// 000000009F90: D3D70048 1D223D36
	v_mfma_i32_16x16x32_i8 v[80:83], a[56:57], a[24:25], v[80:83]// 000000009F98: D3D70050 1D423138
	buffer_load_dwordx4 a[204:207], v48, s[24:27], 0 offen offset:1024// 000000009FA0: E05C1400 8086CC30
	v_mfma_i32_16x16x32_i8 v[80:83], a[58:59], a[26:27], v[80:83]// 000000009FA8: D3D70050 1D42353A
	v_mfma_i32_16x16x32_i8 v[80:83], a[60:61], a[28:29], v[80:83]// 000000009FB0: D3D70050 1D42393C
	v_mfma_i32_16x16x32_i8 v[80:83], a[62:63], a[30:31], v[80:83]// 000000009FB8: D3D70050 1D423D3E
	v_mfma_i32_16x16x32_i8 v[88:91], a[64:65], a[24:25], v[88:91]// 000000009FC0: D3D70058 1D623140
	buffer_load_dwordx4 a[208:211], v49, s[24:27], 0 offen     // 000000009FC8: E05C1000 8086D031
	v_mfma_i32_16x16x32_i8 v[88:91], a[66:67], a[26:27], v[88:91]// 000000009FD0: D3D70058 1D623542
	v_mfma_i32_16x16x32_i8 v[88:91], a[68:69], a[28:29], v[88:91]// 000000009FD8: D3D70058 1D623944
	v_mfma_i32_16x16x32_i8 v[88:91], a[70:71], a[30:31], v[88:91]// 000000009FE0: D3D70058 1D623D46
	v_mfma_i32_16x16x32_i8 v[96:99], a[72:73], a[24:25], v[96:99]// 000000009FE8: D3D70060 1D823148
	buffer_load_dwordx4 a[212:215], v49, s[24:27], 0 offen offset:1024// 000000009FF0: E05C1400 8086D431
	v_mfma_i32_16x16x32_i8 v[96:99], a[74:75], a[26:27], v[96:99]// 000000009FF8: D3D70060 1D82354A
	v_mfma_i32_16x16x32_i8 v[96:99], a[76:77], a[28:29], v[96:99]// 00000000A000: D3D70060 1D82394C
	v_mfma_i32_16x16x32_i8 v[96:99], a[78:79], a[30:31], v[96:99]// 00000000A008: D3D70060 1D823D4E
	v_mfma_i32_16x16x32_i8 v[104:107], a[80:81], a[24:25], v[104:107]// 00000000A010: D3D70068 1DA23150
	buffer_load_dwordx4 a[216:219], v50, s[24:27], 0 offen     // 00000000A018: E05C1000 8086D832
	v_mfma_i32_16x16x32_i8 v[104:107], a[82:83], a[26:27], v[104:107]// 00000000A020: D3D70068 1DA23552
	v_mfma_i32_16x16x32_i8 v[104:107], a[84:85], a[28:29], v[104:107]// 00000000A028: D3D70068 1DA23954
	v_mfma_i32_16x16x32_i8 v[104:107], a[86:87], a[30:31], v[104:107]// 00000000A030: D3D70068 1DA23D56
	v_mfma_i32_16x16x32_i8 v[112:115], a[88:89], a[24:25], v[112:115]// 00000000A038: D3D70070 1DC23158
	buffer_load_dwordx4 a[220:223], v50, s[24:27], 0 offen offset:1024// 00000000A040: E05C1400 8086DC32
	buffer_load_dword v39, s[20:23], 0 offen lds               // 00000000A048: E0511000 80050027
	s_add_u32 m0, 0x100, s50                                   // 00000000A050: 807C32FF 00000100
	v_mfma_i32_16x16x32_i8 v[112:115], a[90:91], a[26:27], v[112:115]// 00000000A058: D3D70070 1DC2355A
	v_mfma_i32_16x16x32_i8 v[112:115], a[92:93], a[28:29], v[112:115]// 00000000A060: D3D70070 1DC2395C
	buffer_load_dword v40, s[20:23], 0 offen lds               // 00000000A068: E0511000 80050028
	s_add_u32 m0, 0x200, s50                                   // 00000000A070: 807C32FF 00000200
	v_mfma_i32_16x16x32_i8 v[112:115], a[94:95], a[30:31], v[112:115]// 00000000A078: D3D70070 1DC23D5E
	buffer_load_dword v41, s[20:23], 0 offen lds               // 00000000A080: E0511000 80050029
	s_add_u32 m0, 0x300, s50                                   // 00000000A088: 807C32FF 00000300
	buffer_load_dword v42, s[20:23], 0 offen lds               // 00000000A090: E0511000 8005002A
	s_add_u32 m0, 0, s48                                       // 00000000A098: 807C3080
	s_waitcnt vmcnt(20)                                        // 00000000A09C: BF8C4F74
	s_barrier                                                  // 00000000A0A0: BF8A0000
	v_mfma_i32_16x16x32_i8 v[116:119], a[96:97], a[16:17], v[116:119]// 00000000A0A4: D3D70074 1DD22160
	buffer_load_dwordx4 a[32:35], v43, s[84:87], 0 offen       // 00000000A0AC: E05C1000 8095202B
	v_mfma_i32_16x16x32_i8 v[116:119], a[98:99], a[18:19], v[116:119]// 00000000A0B4: D3D70074 1DD22562
	v_mfma_i32_16x16x32_i8 v[116:119], a[100:101], a[20:21], v[116:119]// 00000000A0BC: D3D70074 1DD22964
	ds_read_b128 a[0:3], v2 offset:4224                        // 00000000A0C4: DBFE1080 00000002
	ds_read_b128 a[4:7], v2 offset:4288                        // 00000000A0CC: DBFE10C0 04000002
	v_mfma_i32_16x16x32_i8 v[116:119], a[102:103], a[22:23], v[116:119]// 00000000A0D4: D3D70074 1DD22D66
	v_mfma_i32_16x16x32_i8 v[124:127], a[104:105], a[16:17], v[124:127]// 00000000A0DC: D3D7007C 1DF22168
	buffer_load_dwordx4 a[36:39], v43, s[84:87], 0 offen offset:1024// 00000000A0E4: E05C1400 8095242B
	v_mfma_i32_16x16x32_i8 v[124:127], a[106:107], a[18:19], v[124:127]// 00000000A0EC: D3D7007C 1DF2256A
	v_mfma_i32_16x16x32_i8 v[124:127], a[108:109], a[20:21], v[124:127]// 00000000A0F4: D3D7007C 1DF2296C
	ds_read_b128 a[8:11], v2 offset:4736                       // 00000000A0FC: DBFE1280 08000002
	ds_read_b128 a[12:15], v2 offset:4800                      // 00000000A104: DBFE12C0 0C000002
	v_mfma_i32_16x16x32_i8 v[124:127], a[110:111], a[22:23], v[124:127]// 00000000A10C: D3D7007C 1DF22D6E
	v_mfma_i32_16x16x32_i8 v[132:135], a[112:113], a[16:17], v[132:135]// 00000000A114: D3D70084 1E122170
	buffer_load_dwordx4 a[40:43], v44, s[84:87], 0 offen       // 00000000A11C: E05C1000 8095282C
	v_mfma_i32_16x16x32_i8 v[132:135], a[114:115], a[18:19], v[132:135]// 00000000A124: D3D70084 1E122572
	v_mfma_i32_16x16x32_i8 v[132:135], a[116:117], a[20:21], v[132:135]// 00000000A12C: D3D70084 1E122974
	v_mfma_i32_16x16x32_i8 v[132:135], a[118:119], a[22:23], v[132:135]// 00000000A134: D3D70084 1E122D76
	v_mfma_i32_16x16x32_i8 v[140:143], a[120:121], a[16:17], v[140:143]// 00000000A13C: D3D7008C 1E322178
	buffer_load_dwordx4 a[44:47], v44, s[84:87], 0 offen offset:1024// 00000000A144: E05C1400 80952C2C
	v_mfma_i32_16x16x32_i8 v[140:143], a[122:123], a[18:19], v[140:143]// 00000000A14C: D3D7008C 1E32257A
	v_mfma_i32_16x16x32_i8 v[140:143], a[124:125], a[20:21], v[140:143]// 00000000A154: D3D7008C 1E32297C
	v_mfma_i32_16x16x32_i8 v[140:143], a[126:127], a[22:23], v[140:143]// 00000000A15C: D3D7008C 1E322D7E
	v_mfma_i32_16x16x32_i8 v[148:151], a[128:129], a[16:17], v[148:151]// 00000000A164: D3D70094 1E522180
	buffer_load_dwordx4 a[48:51], v45, s[84:87], 0 offen       // 00000000A16C: E05C1000 8095302D
	v_mfma_i32_16x16x32_i8 v[148:151], a[130:131], a[18:19], v[148:151]// 00000000A174: D3D70094 1E522582
	v_mfma_i32_16x16x32_i8 v[148:151], a[132:133], a[20:21], v[148:151]// 00000000A17C: D3D70094 1E522984
	v_mfma_i32_16x16x32_i8 v[148:151], a[134:135], a[22:23], v[148:151]// 00000000A184: D3D70094 1E522D86
	v_mfma_i32_16x16x32_i8 v[156:159], a[136:137], a[16:17], v[156:159]// 00000000A18C: D3D7009C 1E722188
	buffer_load_dwordx4 a[52:55], v45, s[84:87], 0 offen offset:1024// 00000000A194: E05C1400 8095342D
	v_mfma_i32_16x16x32_i8 v[156:159], a[138:139], a[18:19], v[156:159]// 00000000A19C: D3D7009C 1E72258A
	v_mfma_i32_16x16x32_i8 v[156:159], a[140:141], a[20:21], v[156:159]// 00000000A1A4: D3D7009C 1E72298C
	v_mfma_i32_16x16x32_i8 v[156:159], a[142:143], a[22:23], v[156:159]// 00000000A1AC: D3D7009C 1E722D8E
	v_mfma_i32_16x16x32_i8 v[164:167], a[144:145], a[16:17], v[164:167]// 00000000A1B4: D3D700A4 1E922190
	buffer_load_dwordx4 a[56:59], v46, s[84:87], 0 offen       // 00000000A1BC: E05C1000 8095382E
	v_mfma_i32_16x16x32_i8 v[164:167], a[146:147], a[18:19], v[164:167]// 00000000A1C4: D3D700A4 1E922592
	v_mfma_i32_16x16x32_i8 v[164:167], a[148:149], a[20:21], v[164:167]// 00000000A1CC: D3D700A4 1E922994
	v_mfma_i32_16x16x32_i8 v[164:167], a[150:151], a[22:23], v[164:167]// 00000000A1D4: D3D700A4 1E922D96
	v_mfma_i32_16x16x32_i8 v[172:175], a[152:153], a[16:17], v[172:175]// 00000000A1DC: D3D700AC 1EB22198
	buffer_load_dwordx4 a[60:63], v46, s[84:87], 0 offen offset:1024// 00000000A1E4: E05C1400 80953C2E
	v_mfma_i32_16x16x32_i8 v[172:175], a[154:155], a[18:19], v[172:175]// 00000000A1EC: D3D700AC 1EB2259A
	v_mfma_i32_16x16x32_i8 v[172:175], a[156:157], a[20:21], v[172:175]// 00000000A1F4: D3D700AC 1EB2299C
	v_mfma_i32_16x16x32_i8 v[172:175], a[158:159], a[22:23], v[172:175]// 00000000A1FC: D3D700AC 1EB22D9E
	v_mfma_i32_16x16x32_i8 v[120:123], a[96:97], a[24:25], v[120:123]// 00000000A204: D3D70078 1DE23160
	buffer_load_dwordx4 a[64:67], v47, s[84:87], 0 offen       // 00000000A20C: E05C1000 8095402F
	v_mfma_i32_16x16x32_i8 v[120:123], a[98:99], a[26:27], v[120:123]// 00000000A214: D3D70078 1DE23562
	v_mfma_i32_16x16x32_i8 v[120:123], a[100:101], a[28:29], v[120:123]// 00000000A21C: D3D70078 1DE23964
	v_mfma_i32_16x16x32_i8 v[120:123], a[102:103], a[30:31], v[120:123]// 00000000A224: D3D70078 1DE23D66
	v_mfma_i32_16x16x32_i8 v[128:131], a[104:105], a[24:25], v[128:131]// 00000000A22C: D3D70080 1E023168
	buffer_load_dwordx4 a[68:71], v47, s[84:87], 0 offen offset:1024// 00000000A234: E05C1400 8095442F
	v_mfma_i32_16x16x32_i8 v[128:131], a[106:107], a[26:27], v[128:131]// 00000000A23C: D3D70080 1E02356A
	v_mfma_i32_16x16x32_i8 v[128:131], a[108:109], a[28:29], v[128:131]// 00000000A244: D3D70080 1E02396C
	v_mfma_i32_16x16x32_i8 v[128:131], a[110:111], a[30:31], v[128:131]// 00000000A24C: D3D70080 1E023D6E
	v_mfma_i32_16x16x32_i8 v[136:139], a[112:113], a[24:25], v[136:139]// 00000000A254: D3D70088 1E223170
	buffer_load_dwordx4 a[72:75], v48, s[84:87], 0 offen       // 00000000A25C: E05C1000 80954830
	v_mfma_i32_16x16x32_i8 v[136:139], a[114:115], a[26:27], v[136:139]// 00000000A264: D3D70088 1E223572
	v_mfma_i32_16x16x32_i8 v[136:139], a[116:117], a[28:29], v[136:139]// 00000000A26C: D3D70088 1E223974
	v_mfma_i32_16x16x32_i8 v[136:139], a[118:119], a[30:31], v[136:139]// 00000000A274: D3D70088 1E223D76
	v_mfma_i32_16x16x32_i8 v[144:147], a[120:121], a[24:25], v[144:147]// 00000000A27C: D3D70090 1E423178
	buffer_load_dwordx4 a[76:79], v48, s[84:87], 0 offen offset:1024// 00000000A284: E05C1400 80954C30
	v_mfma_i32_16x16x32_i8 v[144:147], a[122:123], a[26:27], v[144:147]// 00000000A28C: D3D70090 1E42357A
	v_mfma_i32_16x16x32_i8 v[144:147], a[124:125], a[28:29], v[144:147]// 00000000A294: D3D70090 1E42397C
	v_mfma_i32_16x16x32_i8 v[144:147], a[126:127], a[30:31], v[144:147]// 00000000A29C: D3D70090 1E423D7E
	v_mfma_i32_16x16x32_i8 v[152:155], a[128:129], a[24:25], v[152:155]// 00000000A2A4: D3D70098 1E623180
	buffer_load_dwordx4 a[80:83], v49, s[84:87], 0 offen       // 00000000A2AC: E05C1000 80955031
	v_mfma_i32_16x16x32_i8 v[152:155], a[130:131], a[26:27], v[152:155]// 00000000A2B4: D3D70098 1E623582
	v_mfma_i32_16x16x32_i8 v[152:155], a[132:133], a[28:29], v[152:155]// 00000000A2BC: D3D70098 1E623984
	v_mfma_i32_16x16x32_i8 v[152:155], a[134:135], a[30:31], v[152:155]// 00000000A2C4: D3D70098 1E623D86
	v_mfma_i32_16x16x32_i8 v[160:163], a[136:137], a[24:25], v[160:163]// 00000000A2CC: D3D700A0 1E823188
	buffer_load_dwordx4 a[84:87], v49, s[84:87], 0 offen offset:1024// 00000000A2D4: E05C1400 80955431
	v_mfma_i32_16x16x32_i8 v[160:163], a[138:139], a[26:27], v[160:163]// 00000000A2DC: D3D700A0 1E82358A
	v_mfma_i32_16x16x32_i8 v[160:163], a[140:141], a[28:29], v[160:163]// 00000000A2E4: D3D700A0 1E82398C
	v_mfma_i32_16x16x32_i8 v[160:163], a[142:143], a[30:31], v[160:163]// 00000000A2EC: D3D700A0 1E823D8E
	v_mfma_i32_16x16x32_i8 v[168:171], a[144:145], a[24:25], v[168:171]// 00000000A2F4: D3D700A8 1EA23190
	buffer_load_dwordx4 a[88:91], v50, s[84:87], 0 offen       // 00000000A2FC: E05C1000 80955832
	s_add_u32 s60, 0x180, s80                                  // 00000000A304: 803C50FF 00000180
	s_cmp_lt_u32 s60, s81                                      // 00000000A30C: BF0A513C
	s_cselect_b32 s57, s57, 0                                  // 00000000A310: 85398039
	v_mfma_i32_16x16x32_i8 v[168:171], a[146:147], a[26:27], v[168:171]// 00000000A314: D3D700A8 1EA23592
	s_add_u32 s60, 0x100, s80                                  // 00000000A31C: 803C50FF 00000100
	s_cmp_lt_u32 s60, s81                                      // 00000000A324: BF0A513C
	s_cselect_b32 s58, s58, 0                                  // 00000000A328: 853A803A
	v_mfma_i32_16x16x32_i8 v[168:171], a[148:149], a[28:29], v[168:171]// 00000000A32C: D3D700A8 1EA23994
	s_add_u32 s60, 0x100, s80                                  // 00000000A334: 803C50FF 00000100
	s_cmp_lt_u32 s60, s81                                      // 00000000A33C: BF0A513C
	s_cselect_b32 s83, s83, 0                                  // 00000000A340: 85538053
	v_mfma_i32_16x16x32_i8 v[168:171], a[150:151], a[30:31], v[168:171]// 00000000A344: D3D700A8 1EA23D96
	s_add_u32 s24, s58, s24                                    // 00000000A34C: 8018183A
	s_addc_u32 s25, 0, s25                                     // 00000000A350: 82191980
	v_mfma_i32_16x16x32_i8 v[176:179], a[152:153], a[24:25], v[176:179]// 00000000A354: D3D700B0 1EC23198
	buffer_load_dwordx4 a[92:95], v50, s[84:87], 0 offen offset:1024// 00000000A35C: E05C1400 80955C32
	s_add_u32 s20, s57, s20                                    // 00000000A364: 80141439
	s_addc_u32 s21, 0, s21                                     // 00000000A368: 82151580
	v_mfma_i32_16x16x32_i8 v[176:179], a[154:155], a[26:27], v[176:179]// 00000000A36C: D3D700B0 1EC2359A
	s_add_u32 s84, s83, s84                                    // 00000000A374: 80545453
	s_addc_u32 s85, 0, s85                                     // 00000000A378: 82555580
	v_mfma_i32_16x16x32_i8 v[176:179], a[156:157], a[28:29], v[176:179]// 00000000A37C: D3D700B0 1EC2399C
	v_mfma_i32_16x16x32_i8 v[176:179], a[158:159], a[30:31], v[176:179]// 00000000A384: D3D700B0 1EC23D9E
	s_addk_i32 s80, 0x80                                       // 00000000A38C: B7500080
	s_cmp_lt_i32 s80, s81                                      // 00000000A390: BF045150
	s_cbranch_scc0 label_2148                                  // 00000000A394: BF8402DF
	s_waitcnt vmcnt(20) lgkmcnt(0)                             // 00000000A398: BF8C4074
	v_mfma_i32_16x16x32_i8 v[52:55], a[160:161], a[0:1], v[52:55]// 00000000A39C: D3D70034 1CD201A0
	buffer_load_dwordx4 a[96:99], v43, s[24:27], 0 offen       // 00000000A3A4: E05C1000 8086602B
	v_mfma_i32_16x16x32_i8 v[52:55], a[162:163], a[2:3], v[52:55]// 00000000A3AC: D3D70034 1CD205A2
	v_mfma_i32_16x16x32_i8 v[52:55], a[164:165], a[4:5], v[52:55]// 00000000A3B4: D3D70034 1CD209A4
	v_mfma_i32_16x16x32_i8 v[52:55], a[166:167], a[6:7], v[52:55]// 00000000A3BC: D3D70034 1CD20DA6
	v_mfma_i32_16x16x32_i8 v[60:63], a[168:169], a[0:1], v[60:63]// 00000000A3C4: D3D7003C 1CF201A8
	buffer_load_dwordx4 a[100:103], v43, s[24:27], 0 offen offset:1024// 00000000A3CC: E05C1400 8086642B
	v_mfma_i32_16x16x32_i8 v[60:63], a[170:171], a[2:3], v[60:63]// 00000000A3D4: D3D7003C 1CF205AA
	v_mfma_i32_16x16x32_i8 v[60:63], a[172:173], a[4:5], v[60:63]// 00000000A3DC: D3D7003C 1CF209AC
	v_mfma_i32_16x16x32_i8 v[60:63], a[174:175], a[6:7], v[60:63]// 00000000A3E4: D3D7003C 1CF20DAE
	v_mfma_i32_16x16x32_i8 v[68:71], a[176:177], a[0:1], v[68:71]// 00000000A3EC: D3D70044 1D1201B0
	buffer_load_dwordx4 a[104:107], v44, s[24:27], 0 offen     // 00000000A3F4: E05C1000 8086682C
	v_mfma_i32_16x16x32_i8 v[68:71], a[178:179], a[2:3], v[68:71]// 00000000A3FC: D3D70044 1D1205B2
	v_mfma_i32_16x16x32_i8 v[68:71], a[180:181], a[4:5], v[68:71]// 00000000A404: D3D70044 1D1209B4
	v_mfma_i32_16x16x32_i8 v[68:71], a[182:183], a[6:7], v[68:71]// 00000000A40C: D3D70044 1D120DB6
	v_mfma_i32_16x16x32_i8 v[76:79], a[184:185], a[0:1], v[76:79]// 00000000A414: D3D7004C 1D3201B8
	buffer_load_dwordx4 a[108:111], v44, s[24:27], 0 offen offset:1024// 00000000A41C: E05C1400 80866C2C
	v_mfma_i32_16x16x32_i8 v[76:79], a[186:187], a[2:3], v[76:79]// 00000000A424: D3D7004C 1D3205BA
	v_mfma_i32_16x16x32_i8 v[76:79], a[188:189], a[4:5], v[76:79]// 00000000A42C: D3D7004C 1D3209BC
	v_mfma_i32_16x16x32_i8 v[76:79], a[190:191], a[6:7], v[76:79]// 00000000A434: D3D7004C 1D320DBE
	v_mfma_i32_16x16x32_i8 v[84:87], a[192:193], a[0:1], v[84:87]// 00000000A43C: D3D70054 1D5201C0
	buffer_load_dwordx4 a[112:115], v45, s[24:27], 0 offen     // 00000000A444: E05C1000 8086702D
	v_mfma_i32_16x16x32_i8 v[84:87], a[194:195], a[2:3], v[84:87]// 00000000A44C: D3D70054 1D5205C2
	v_mfma_i32_16x16x32_i8 v[84:87], a[196:197], a[4:5], v[84:87]// 00000000A454: D3D70054 1D5209C4
	v_mfma_i32_16x16x32_i8 v[84:87], a[198:199], a[6:7], v[84:87]// 00000000A45C: D3D70054 1D520DC6
	v_mfma_i32_16x16x32_i8 v[92:95], a[200:201], a[0:1], v[92:95]// 00000000A464: D3D7005C 1D7201C8
	buffer_load_dwordx4 a[116:119], v45, s[24:27], 0 offen offset:1024// 00000000A46C: E05C1400 8086742D
	v_mfma_i32_16x16x32_i8 v[92:95], a[202:203], a[2:3], v[92:95]// 00000000A474: D3D7005C 1D7205CA
	v_mfma_i32_16x16x32_i8 v[92:95], a[204:205], a[4:5], v[92:95]// 00000000A47C: D3D7005C 1D7209CC
	v_mfma_i32_16x16x32_i8 v[92:95], a[206:207], a[6:7], v[92:95]// 00000000A484: D3D7005C 1D720DCE
	v_mfma_i32_16x16x32_i8 v[100:103], a[208:209], a[0:1], v[100:103]// 00000000A48C: D3D70064 1D9201D0
	buffer_load_dwordx4 a[120:123], v46, s[24:27], 0 offen     // 00000000A494: E05C1000 8086782E
	v_mfma_i32_16x16x32_i8 v[100:103], a[210:211], a[2:3], v[100:103]// 00000000A49C: D3D70064 1D9205D2
	v_mfma_i32_16x16x32_i8 v[100:103], a[212:213], a[4:5], v[100:103]// 00000000A4A4: D3D70064 1D9209D4
	v_mfma_i32_16x16x32_i8 v[100:103], a[214:215], a[6:7], v[100:103]// 00000000A4AC: D3D70064 1D920DD6
	v_mfma_i32_16x16x32_i8 v[108:111], a[216:217], a[0:1], v[108:111]// 00000000A4B4: D3D7006C 1DB201D8
	buffer_load_dwordx4 a[124:127], v46, s[24:27], 0 offen offset:1024// 00000000A4BC: E05C1400 80867C2E
	v_mfma_i32_16x16x32_i8 v[108:111], a[218:219], a[2:3], v[108:111]// 00000000A4C4: D3D7006C 1DB205DA
	v_mfma_i32_16x16x32_i8 v[108:111], a[220:221], a[4:5], v[108:111]// 00000000A4CC: D3D7006C 1DB209DC
	v_mfma_i32_16x16x32_i8 v[108:111], a[222:223], a[6:7], v[108:111]// 00000000A4D4: D3D7006C 1DB20DDE
	v_mfma_i32_16x16x32_i8 v[56:59], a[160:161], a[8:9], v[56:59]// 00000000A4DC: D3D70038 1CE211A0
	buffer_load_dwordx4 a[128:131], v47, s[24:27], 0 offen     // 00000000A4E4: E05C1000 8086802F
	v_mfma_i32_16x16x32_i8 v[56:59], a[162:163], a[10:11], v[56:59]// 00000000A4EC: D3D70038 1CE215A2
	v_mfma_i32_16x16x32_i8 v[56:59], a[164:165], a[12:13], v[56:59]// 00000000A4F4: D3D70038 1CE219A4
	v_mfma_i32_16x16x32_i8 v[56:59], a[166:167], a[14:15], v[56:59]// 00000000A4FC: D3D70038 1CE21DA6
	v_mfma_i32_16x16x32_i8 v[64:67], a[168:169], a[8:9], v[64:67]// 00000000A504: D3D70040 1D0211A8
	buffer_load_dwordx4 a[132:135], v47, s[24:27], 0 offen offset:1024// 00000000A50C: E05C1400 8086842F
	v_mfma_i32_16x16x32_i8 v[64:67], a[170:171], a[10:11], v[64:67]// 00000000A514: D3D70040 1D0215AA
	v_mfma_i32_16x16x32_i8 v[64:67], a[172:173], a[12:13], v[64:67]// 00000000A51C: D3D70040 1D0219AC
	v_mfma_i32_16x16x32_i8 v[64:67], a[174:175], a[14:15], v[64:67]// 00000000A524: D3D70040 1D021DAE
	v_mfma_i32_16x16x32_i8 v[72:75], a[176:177], a[8:9], v[72:75]// 00000000A52C: D3D70048 1D2211B0
	buffer_load_dwordx4 a[136:139], v48, s[24:27], 0 offen     // 00000000A534: E05C1000 80868830
	v_mfma_i32_16x16x32_i8 v[72:75], a[178:179], a[10:11], v[72:75]// 00000000A53C: D3D70048 1D2215B2
	v_mfma_i32_16x16x32_i8 v[72:75], a[180:181], a[12:13], v[72:75]// 00000000A544: D3D70048 1D2219B4
	v_mfma_i32_16x16x32_i8 v[72:75], a[182:183], a[14:15], v[72:75]// 00000000A54C: D3D70048 1D221DB6
	v_mfma_i32_16x16x32_i8 v[80:83], a[184:185], a[8:9], v[80:83]// 00000000A554: D3D70050 1D4211B8
	buffer_load_dwordx4 a[140:143], v48, s[24:27], 0 offen offset:1024// 00000000A55C: E05C1400 80868C30
	v_mfma_i32_16x16x32_i8 v[80:83], a[186:187], a[10:11], v[80:83]// 00000000A564: D3D70050 1D4215BA
	v_mfma_i32_16x16x32_i8 v[80:83], a[188:189], a[12:13], v[80:83]// 00000000A56C: D3D70050 1D4219BC
	v_mfma_i32_16x16x32_i8 v[80:83], a[190:191], a[14:15], v[80:83]// 00000000A574: D3D70050 1D421DBE
	v_mfma_i32_16x16x32_i8 v[88:91], a[192:193], a[8:9], v[88:91]// 00000000A57C: D3D70058 1D6211C0
	buffer_load_dwordx4 a[144:147], v49, s[24:27], 0 offen     // 00000000A584: E05C1000 80869031
	v_mfma_i32_16x16x32_i8 v[88:91], a[194:195], a[10:11], v[88:91]// 00000000A58C: D3D70058 1D6215C2
	v_mfma_i32_16x16x32_i8 v[88:91], a[196:197], a[12:13], v[88:91]// 00000000A594: D3D70058 1D6219C4
	v_mfma_i32_16x16x32_i8 v[88:91], a[198:199], a[14:15], v[88:91]// 00000000A59C: D3D70058 1D621DC6
	v_mfma_i32_16x16x32_i8 v[96:99], a[200:201], a[8:9], v[96:99]// 00000000A5A4: D3D70060 1D8211C8
	buffer_load_dwordx4 a[148:151], v49, s[24:27], 0 offen offset:1024// 00000000A5AC: E05C1400 80869431
	v_mfma_i32_16x16x32_i8 v[96:99], a[202:203], a[10:11], v[96:99]// 00000000A5B4: D3D70060 1D8215CA
	v_mfma_i32_16x16x32_i8 v[96:99], a[204:205], a[12:13], v[96:99]// 00000000A5BC: D3D70060 1D8219CC
	v_mfma_i32_16x16x32_i8 v[96:99], a[206:207], a[14:15], v[96:99]// 00000000A5C4: D3D70060 1D821DCE
	v_mfma_i32_16x16x32_i8 v[104:107], a[208:209], a[8:9], v[104:107]// 00000000A5CC: D3D70068 1DA211D0
	buffer_load_dwordx4 a[152:155], v50, s[24:27], 0 offen     // 00000000A5D4: E05C1000 80869832
	v_mfma_i32_16x16x32_i8 v[104:107], a[210:211], a[10:11], v[104:107]// 00000000A5DC: D3D70068 1DA215D2
	v_mfma_i32_16x16x32_i8 v[104:107], a[212:213], a[12:13], v[104:107]// 00000000A5E4: D3D70068 1DA219D4
	v_mfma_i32_16x16x32_i8 v[104:107], a[214:215], a[14:15], v[104:107]// 00000000A5EC: D3D70068 1DA21DD6
	v_mfma_i32_16x16x32_i8 v[112:115], a[216:217], a[8:9], v[112:115]// 00000000A5F4: D3D70070 1DC211D8
	buffer_load_dwordx4 a[156:159], v50, s[24:27], 0 offen offset:1024// 00000000A5FC: E05C1400 80869C32
	buffer_load_dword v39, s[20:23], 0 offen lds               // 00000000A604: E0511000 80050027
	s_add_u32 m0, 0x100, s48                                   // 00000000A60C: 807C30FF 00000100
	v_mfma_i32_16x16x32_i8 v[112:115], a[218:219], a[10:11], v[112:115]// 00000000A614: D3D70070 1DC215DA
	v_mfma_i32_16x16x32_i8 v[112:115], a[220:221], a[12:13], v[112:115]// 00000000A61C: D3D70070 1DC219DC
	buffer_load_dword v40, s[20:23], 0 offen lds               // 00000000A624: E0511000 80050028
	s_add_u32 m0, 0x200, s48                                   // 00000000A62C: 807C30FF 00000200
	v_mfma_i32_16x16x32_i8 v[112:115], a[222:223], a[14:15], v[112:115]// 00000000A634: D3D70070 1DC21DDE
	buffer_load_dword v41, s[20:23], 0 offen lds               // 00000000A63C: E0511000 80050029
	s_add_u32 m0, 0x300, s48                                   // 00000000A644: 807C30FF 00000300
	buffer_load_dword v42, s[20:23], 0 offen lds               // 00000000A64C: E0511000 8005002A
	s_add_u32 m0, 0, s49                                       // 00000000A654: 807C3180
	s_waitcnt vmcnt(20)                                        // 00000000A658: BF8C4F74
	s_barrier                                                  // 00000000A65C: BF8A0000
	v_mfma_i32_16x16x32_i8 v[116:119], a[32:33], a[0:1], v[116:119]// 00000000A660: D3D70074 1DD20120
	buffer_load_dwordx4 a[160:163], v43, s[84:87], 0 offen     // 00000000A668: E05C1000 8095A02B
	v_mfma_i32_16x16x32_i8 v[116:119], a[34:35], a[2:3], v[116:119]// 00000000A670: D3D70074 1DD20522
	v_mfma_i32_16x16x32_i8 v[116:119], a[36:37], a[4:5], v[116:119]// 00000000A678: D3D70074 1DD20924
	ds_read_b128 a[16:19], v2 offset:8448                      // 00000000A680: DBFE2100 10000002
	ds_read_b128 a[20:23], v2 offset:8512                      // 00000000A688: DBFE2140 14000002
	v_mfma_i32_16x16x32_i8 v[116:119], a[38:39], a[6:7], v[116:119]// 00000000A690: D3D70074 1DD20D26
	v_mfma_i32_16x16x32_i8 v[124:127], a[40:41], a[0:1], v[124:127]// 00000000A698: D3D7007C 1DF20128
	buffer_load_dwordx4 a[164:167], v43, s[84:87], 0 offen offset:1024// 00000000A6A0: E05C1400 8095A42B
	v_mfma_i32_16x16x32_i8 v[124:127], a[42:43], a[2:3], v[124:127]// 00000000A6A8: D3D7007C 1DF2052A
	v_mfma_i32_16x16x32_i8 v[124:127], a[44:45], a[4:5], v[124:127]// 00000000A6B0: D3D7007C 1DF2092C
	ds_read_b128 a[24:27], v2 offset:8960                      // 00000000A6B8: DBFE2300 18000002
	ds_read_b128 a[28:31], v2 offset:9024                      // 00000000A6C0: DBFE2340 1C000002
	v_mfma_i32_16x16x32_i8 v[124:127], a[46:47], a[6:7], v[124:127]// 00000000A6C8: D3D7007C 1DF20D2E
	v_mfma_i32_16x16x32_i8 v[132:135], a[48:49], a[0:1], v[132:135]// 00000000A6D0: D3D70084 1E120130
	buffer_load_dwordx4 a[168:171], v44, s[84:87], 0 offen     // 00000000A6D8: E05C1000 8095A82C
	v_mfma_i32_16x16x32_i8 v[132:135], a[50:51], a[2:3], v[132:135]// 00000000A6E0: D3D70084 1E120532
	v_mfma_i32_16x16x32_i8 v[132:135], a[52:53], a[4:5], v[132:135]// 00000000A6E8: D3D70084 1E120934
	v_mfma_i32_16x16x32_i8 v[132:135], a[54:55], a[6:7], v[132:135]// 00000000A6F0: D3D70084 1E120D36
	v_mfma_i32_16x16x32_i8 v[140:143], a[56:57], a[0:1], v[140:143]// 00000000A6F8: D3D7008C 1E320138
	buffer_load_dwordx4 a[172:175], v44, s[84:87], 0 offen offset:1024// 00000000A700: E05C1400 8095AC2C
	v_mfma_i32_16x16x32_i8 v[140:143], a[58:59], a[2:3], v[140:143]// 00000000A708: D3D7008C 1E32053A
	v_mfma_i32_16x16x32_i8 v[140:143], a[60:61], a[4:5], v[140:143]// 00000000A710: D3D7008C 1E32093C
	v_mfma_i32_16x16x32_i8 v[140:143], a[62:63], a[6:7], v[140:143]// 00000000A718: D3D7008C 1E320D3E
	v_mfma_i32_16x16x32_i8 v[148:151], a[64:65], a[0:1], v[148:151]// 00000000A720: D3D70094 1E520140
	buffer_load_dwordx4 a[176:179], v45, s[84:87], 0 offen     // 00000000A728: E05C1000 8095B02D
	v_mfma_i32_16x16x32_i8 v[148:151], a[66:67], a[2:3], v[148:151]// 00000000A730: D3D70094 1E520542
	v_mfma_i32_16x16x32_i8 v[148:151], a[68:69], a[4:5], v[148:151]// 00000000A738: D3D70094 1E520944
	v_mfma_i32_16x16x32_i8 v[148:151], a[70:71], a[6:7], v[148:151]// 00000000A740: D3D70094 1E520D46
	v_mfma_i32_16x16x32_i8 v[156:159], a[72:73], a[0:1], v[156:159]// 00000000A748: D3D7009C 1E720148
	buffer_load_dwordx4 a[180:183], v45, s[84:87], 0 offen offset:1024// 00000000A750: E05C1400 8095B42D
	v_mfma_i32_16x16x32_i8 v[156:159], a[74:75], a[2:3], v[156:159]// 00000000A758: D3D7009C 1E72054A
	v_mfma_i32_16x16x32_i8 v[156:159], a[76:77], a[4:5], v[156:159]// 00000000A760: D3D7009C 1E72094C
	v_mfma_i32_16x16x32_i8 v[156:159], a[78:79], a[6:7], v[156:159]// 00000000A768: D3D7009C 1E720D4E
	v_mfma_i32_16x16x32_i8 v[164:167], a[80:81], a[0:1], v[164:167]// 00000000A770: D3D700A4 1E920150
	buffer_load_dwordx4 a[184:187], v46, s[84:87], 0 offen     // 00000000A778: E05C1000 8095B82E
	v_mfma_i32_16x16x32_i8 v[164:167], a[82:83], a[2:3], v[164:167]// 00000000A780: D3D700A4 1E920552
	v_mfma_i32_16x16x32_i8 v[164:167], a[84:85], a[4:5], v[164:167]// 00000000A788: D3D700A4 1E920954
	v_mfma_i32_16x16x32_i8 v[164:167], a[86:87], a[6:7], v[164:167]// 00000000A790: D3D700A4 1E920D56
	v_mfma_i32_16x16x32_i8 v[172:175], a[88:89], a[0:1], v[172:175]// 00000000A798: D3D700AC 1EB20158
	buffer_load_dwordx4 a[188:191], v46, s[84:87], 0 offen offset:1024// 00000000A7A0: E05C1400 8095BC2E
	v_mfma_i32_16x16x32_i8 v[172:175], a[90:91], a[2:3], v[172:175]// 00000000A7A8: D3D700AC 1EB2055A
	v_mfma_i32_16x16x32_i8 v[172:175], a[92:93], a[4:5], v[172:175]// 00000000A7B0: D3D700AC 1EB2095C
	v_mfma_i32_16x16x32_i8 v[172:175], a[94:95], a[6:7], v[172:175]// 00000000A7B8: D3D700AC 1EB20D5E
	v_mfma_i32_16x16x32_i8 v[120:123], a[32:33], a[8:9], v[120:123]// 00000000A7C0: D3D70078 1DE21120
	buffer_load_dwordx4 a[192:195], v47, s[84:87], 0 offen     // 00000000A7C8: E05C1000 8095C02F
	v_mfma_i32_16x16x32_i8 v[120:123], a[34:35], a[10:11], v[120:123]// 00000000A7D0: D3D70078 1DE21522
	v_mfma_i32_16x16x32_i8 v[120:123], a[36:37], a[12:13], v[120:123]// 00000000A7D8: D3D70078 1DE21924
	v_mfma_i32_16x16x32_i8 v[120:123], a[38:39], a[14:15], v[120:123]// 00000000A7E0: D3D70078 1DE21D26
	v_mfma_i32_16x16x32_i8 v[128:131], a[40:41], a[8:9], v[128:131]// 00000000A7E8: D3D70080 1E021128
	buffer_load_dwordx4 a[196:199], v47, s[84:87], 0 offen offset:1024// 00000000A7F0: E05C1400 8095C42F
	v_mfma_i32_16x16x32_i8 v[128:131], a[42:43], a[10:11], v[128:131]// 00000000A7F8: D3D70080 1E02152A
	v_mfma_i32_16x16x32_i8 v[128:131], a[44:45], a[12:13], v[128:131]// 00000000A800: D3D70080 1E02192C
	v_mfma_i32_16x16x32_i8 v[128:131], a[46:47], a[14:15], v[128:131]// 00000000A808: D3D70080 1E021D2E
	v_mfma_i32_16x16x32_i8 v[136:139], a[48:49], a[8:9], v[136:139]// 00000000A810: D3D70088 1E221130
	buffer_load_dwordx4 a[200:203], v48, s[84:87], 0 offen     // 00000000A818: E05C1000 8095C830
	v_mfma_i32_16x16x32_i8 v[136:139], a[50:51], a[10:11], v[136:139]// 00000000A820: D3D70088 1E221532
	v_mfma_i32_16x16x32_i8 v[136:139], a[52:53], a[12:13], v[136:139]// 00000000A828: D3D70088 1E221934
	v_mfma_i32_16x16x32_i8 v[136:139], a[54:55], a[14:15], v[136:139]// 00000000A830: D3D70088 1E221D36
	v_mfma_i32_16x16x32_i8 v[144:147], a[56:57], a[8:9], v[144:147]// 00000000A838: D3D70090 1E421138
	buffer_load_dwordx4 a[204:207], v48, s[84:87], 0 offen offset:1024// 00000000A840: E05C1400 8095CC30
	v_mfma_i32_16x16x32_i8 v[144:147], a[58:59], a[10:11], v[144:147]// 00000000A848: D3D70090 1E42153A
	v_mfma_i32_16x16x32_i8 v[144:147], a[60:61], a[12:13], v[144:147]// 00000000A850: D3D70090 1E42193C
	v_mfma_i32_16x16x32_i8 v[144:147], a[62:63], a[14:15], v[144:147]// 00000000A858: D3D70090 1E421D3E
	v_mfma_i32_16x16x32_i8 v[152:155], a[64:65], a[8:9], v[152:155]// 00000000A860: D3D70098 1E621140
	buffer_load_dwordx4 a[208:211], v49, s[84:87], 0 offen     // 00000000A868: E05C1000 8095D031
	v_mfma_i32_16x16x32_i8 v[152:155], a[66:67], a[10:11], v[152:155]// 00000000A870: D3D70098 1E621542
	v_mfma_i32_16x16x32_i8 v[152:155], a[68:69], a[12:13], v[152:155]// 00000000A878: D3D70098 1E621944
	v_mfma_i32_16x16x32_i8 v[152:155], a[70:71], a[14:15], v[152:155]// 00000000A880: D3D70098 1E621D46
	v_mfma_i32_16x16x32_i8 v[160:163], a[72:73], a[8:9], v[160:163]// 00000000A888: D3D700A0 1E821148
	buffer_load_dwordx4 a[212:215], v49, s[84:87], 0 offen offset:1024// 00000000A890: E05C1400 8095D431
	v_mfma_i32_16x16x32_i8 v[160:163], a[74:75], a[10:11], v[160:163]// 00000000A898: D3D700A0 1E82154A
	v_mfma_i32_16x16x32_i8 v[160:163], a[76:77], a[12:13], v[160:163]// 00000000A8A0: D3D700A0 1E82194C
	v_mfma_i32_16x16x32_i8 v[160:163], a[78:79], a[14:15], v[160:163]// 00000000A8A8: D3D700A0 1E821D4E
	v_mfma_i32_16x16x32_i8 v[168:171], a[80:81], a[8:9], v[168:171]// 00000000A8B0: D3D700A8 1EA21150
	buffer_load_dwordx4 a[216:219], v50, s[84:87], 0 offen     // 00000000A8B8: E05C1000 8095D832
	s_add_u32 s60, 0x180, s80                                  // 00000000A8C0: 803C50FF 00000180
	s_cmp_lt_u32 s60, s81                                      // 00000000A8C8: BF0A513C
	s_cselect_b32 s57, s57, 0                                  // 00000000A8CC: 85398039
	v_mfma_i32_16x16x32_i8 v[168:171], a[82:83], a[10:11], v[168:171]// 00000000A8D0: D3D700A8 1EA21552
	s_add_u32 s60, 0x100, s80                                  // 00000000A8D8: 803C50FF 00000100
	s_cmp_lt_u32 s60, s81                                      // 00000000A8E0: BF0A513C
	s_cselect_b32 s58, s58, 0                                  // 00000000A8E4: 853A803A
	v_mfma_i32_16x16x32_i8 v[168:171], a[84:85], a[12:13], v[168:171]// 00000000A8E8: D3D700A8 1EA21954
	s_add_u32 s60, 0x100, s80                                  // 00000000A8F0: 803C50FF 00000100
	s_cmp_lt_u32 s60, s81                                      // 00000000A8F8: BF0A513C
	s_cselect_b32 s83, s83, 0                                  // 00000000A8FC: 85538053
	v_mfma_i32_16x16x32_i8 v[168:171], a[86:87], a[14:15], v[168:171]// 00000000A900: D3D700A8 1EA21D56
	s_add_u32 s24, s58, s24                                    // 00000000A908: 8018183A
	s_addc_u32 s25, 0, s25                                     // 00000000A90C: 82191980
	v_mfma_i32_16x16x32_i8 v[176:179], a[88:89], a[8:9], v[176:179]// 00000000A910: D3D700B0 1EC21158
	buffer_load_dwordx4 a[220:223], v50, s[84:87], 0 offen offset:1024// 00000000A918: E05C1400 8095DC32
	s_add_u32 s20, s57, s20                                    // 00000000A920: 80141439
	s_addc_u32 s21, 0, s21                                     // 00000000A924: 82151580
	v_mfma_i32_16x16x32_i8 v[176:179], a[90:91], a[10:11], v[176:179]// 00000000A928: D3D700B0 1EC2155A
	s_add_u32 s84, s83, s84                                    // 00000000A930: 80545453
	s_addc_u32 s85, 0, s85                                     // 00000000A934: 82555580
	v_mfma_i32_16x16x32_i8 v[176:179], a[92:93], a[12:13], v[176:179]// 00000000A938: D3D700B0 1EC2195C
	v_mfma_i32_16x16x32_i8 v[176:179], a[94:95], a[14:15], v[176:179]// 00000000A940: D3D700B0 1EC21D5E
	s_addk_i32 s80, 0x80                                       // 00000000A948: B7500080
	s_cmp_lt_i32 s80, s81                                      // 00000000A94C: BF045150
	s_cbranch_scc0 label_2148                                  // 00000000A950: BF840170
	s_waitcnt vmcnt(20) lgkmcnt(0)                             // 00000000A954: BF8C4074
	v_mfma_i32_16x16x32_i8 v[52:55], a[96:97], a[16:17], v[52:55]// 00000000A958: D3D70034 1CD22160
	buffer_load_dwordx4 a[32:35], v43, s[24:27], 0 offen       // 00000000A960: E05C1000 8086202B
	v_mfma_i32_16x16x32_i8 v[52:55], a[98:99], a[18:19], v[52:55]// 00000000A968: D3D70034 1CD22562
	v_mfma_i32_16x16x32_i8 v[52:55], a[100:101], a[20:21], v[52:55]// 00000000A970: D3D70034 1CD22964
	v_mfma_i32_16x16x32_i8 v[52:55], a[102:103], a[22:23], v[52:55]// 00000000A978: D3D70034 1CD22D66
	v_mfma_i32_16x16x32_i8 v[60:63], a[104:105], a[16:17], v[60:63]// 00000000A980: D3D7003C 1CF22168
	buffer_load_dwordx4 a[36:39], v43, s[24:27], 0 offen offset:1024// 00000000A988: E05C1400 8086242B
	v_mfma_i32_16x16x32_i8 v[60:63], a[106:107], a[18:19], v[60:63]// 00000000A990: D3D7003C 1CF2256A
	v_mfma_i32_16x16x32_i8 v[60:63], a[108:109], a[20:21], v[60:63]// 00000000A998: D3D7003C 1CF2296C
	v_mfma_i32_16x16x32_i8 v[60:63], a[110:111], a[22:23], v[60:63]// 00000000A9A0: D3D7003C 1CF22D6E
	v_mfma_i32_16x16x32_i8 v[68:71], a[112:113], a[16:17], v[68:71]// 00000000A9A8: D3D70044 1D122170
	buffer_load_dwordx4 a[40:43], v44, s[24:27], 0 offen       // 00000000A9B0: E05C1000 8086282C
	v_mfma_i32_16x16x32_i8 v[68:71], a[114:115], a[18:19], v[68:71]// 00000000A9B8: D3D70044 1D122572
	v_mfma_i32_16x16x32_i8 v[68:71], a[116:117], a[20:21], v[68:71]// 00000000A9C0: D3D70044 1D122974
	v_mfma_i32_16x16x32_i8 v[68:71], a[118:119], a[22:23], v[68:71]// 00000000A9C8: D3D70044 1D122D76
	v_mfma_i32_16x16x32_i8 v[76:79], a[120:121], a[16:17], v[76:79]// 00000000A9D0: D3D7004C 1D322178
	buffer_load_dwordx4 a[44:47], v44, s[24:27], 0 offen offset:1024// 00000000A9D8: E05C1400 80862C2C
	v_mfma_i32_16x16x32_i8 v[76:79], a[122:123], a[18:19], v[76:79]// 00000000A9E0: D3D7004C 1D32257A
	v_mfma_i32_16x16x32_i8 v[76:79], a[124:125], a[20:21], v[76:79]// 00000000A9E8: D3D7004C 1D32297C
	v_mfma_i32_16x16x32_i8 v[76:79], a[126:127], a[22:23], v[76:79]// 00000000A9F0: D3D7004C 1D322D7E
	v_mfma_i32_16x16x32_i8 v[84:87], a[128:129], a[16:17], v[84:87]// 00000000A9F8: D3D70054 1D522180
	buffer_load_dwordx4 a[48:51], v45, s[24:27], 0 offen       // 00000000AA00: E05C1000 8086302D
	v_mfma_i32_16x16x32_i8 v[84:87], a[130:131], a[18:19], v[84:87]// 00000000AA08: D3D70054 1D522582
	v_mfma_i32_16x16x32_i8 v[84:87], a[132:133], a[20:21], v[84:87]// 00000000AA10: D3D70054 1D522984
	v_mfma_i32_16x16x32_i8 v[84:87], a[134:135], a[22:23], v[84:87]// 00000000AA18: D3D70054 1D522D86
	v_mfma_i32_16x16x32_i8 v[92:95], a[136:137], a[16:17], v[92:95]// 00000000AA20: D3D7005C 1D722188
	buffer_load_dwordx4 a[52:55], v45, s[24:27], 0 offen offset:1024// 00000000AA28: E05C1400 8086342D
	v_mfma_i32_16x16x32_i8 v[92:95], a[138:139], a[18:19], v[92:95]// 00000000AA30: D3D7005C 1D72258A
	v_mfma_i32_16x16x32_i8 v[92:95], a[140:141], a[20:21], v[92:95]// 00000000AA38: D3D7005C 1D72298C
	v_mfma_i32_16x16x32_i8 v[92:95], a[142:143], a[22:23], v[92:95]// 00000000AA40: D3D7005C 1D722D8E
	v_mfma_i32_16x16x32_i8 v[100:103], a[144:145], a[16:17], v[100:103]// 00000000AA48: D3D70064 1D922190
	buffer_load_dwordx4 a[56:59], v46, s[24:27], 0 offen       // 00000000AA50: E05C1000 8086382E
	v_mfma_i32_16x16x32_i8 v[100:103], a[146:147], a[18:19], v[100:103]// 00000000AA58: D3D70064 1D922592
	v_mfma_i32_16x16x32_i8 v[100:103], a[148:149], a[20:21], v[100:103]// 00000000AA60: D3D70064 1D922994
	v_mfma_i32_16x16x32_i8 v[100:103], a[150:151], a[22:23], v[100:103]// 00000000AA68: D3D70064 1D922D96
	v_mfma_i32_16x16x32_i8 v[108:111], a[152:153], a[16:17], v[108:111]// 00000000AA70: D3D7006C 1DB22198
	buffer_load_dwordx4 a[60:63], v46, s[24:27], 0 offen offset:1024// 00000000AA78: E05C1400 80863C2E
	v_mfma_i32_16x16x32_i8 v[108:111], a[154:155], a[18:19], v[108:111]// 00000000AA80: D3D7006C 1DB2259A
	v_mfma_i32_16x16x32_i8 v[108:111], a[156:157], a[20:21], v[108:111]// 00000000AA88: D3D7006C 1DB2299C
	v_mfma_i32_16x16x32_i8 v[108:111], a[158:159], a[22:23], v[108:111]// 00000000AA90: D3D7006C 1DB22D9E
	v_mfma_i32_16x16x32_i8 v[56:59], a[96:97], a[24:25], v[56:59]// 00000000AA98: D3D70038 1CE23160
	buffer_load_dwordx4 a[64:67], v47, s[24:27], 0 offen       // 00000000AAA0: E05C1000 8086402F
	v_mfma_i32_16x16x32_i8 v[56:59], a[98:99], a[26:27], v[56:59]// 00000000AAA8: D3D70038 1CE23562
	v_mfma_i32_16x16x32_i8 v[56:59], a[100:101], a[28:29], v[56:59]// 00000000AAB0: D3D70038 1CE23964
	v_mfma_i32_16x16x32_i8 v[56:59], a[102:103], a[30:31], v[56:59]// 00000000AAB8: D3D70038 1CE23D66
	v_mfma_i32_16x16x32_i8 v[64:67], a[104:105], a[24:25], v[64:67]// 00000000AAC0: D3D70040 1D023168
	buffer_load_dwordx4 a[68:71], v47, s[24:27], 0 offen offset:1024// 00000000AAC8: E05C1400 8086442F
	v_mfma_i32_16x16x32_i8 v[64:67], a[106:107], a[26:27], v[64:67]// 00000000AAD0: D3D70040 1D02356A
	v_mfma_i32_16x16x32_i8 v[64:67], a[108:109], a[28:29], v[64:67]// 00000000AAD8: D3D70040 1D02396C
	v_mfma_i32_16x16x32_i8 v[64:67], a[110:111], a[30:31], v[64:67]// 00000000AAE0: D3D70040 1D023D6E
	v_mfma_i32_16x16x32_i8 v[72:75], a[112:113], a[24:25], v[72:75]// 00000000AAE8: D3D70048 1D223170
	buffer_load_dwordx4 a[72:75], v48, s[24:27], 0 offen       // 00000000AAF0: E05C1000 80864830
	v_mfma_i32_16x16x32_i8 v[72:75], a[114:115], a[26:27], v[72:75]// 00000000AAF8: D3D70048 1D223572
	v_mfma_i32_16x16x32_i8 v[72:75], a[116:117], a[28:29], v[72:75]// 00000000AB00: D3D70048 1D223974
	v_mfma_i32_16x16x32_i8 v[72:75], a[118:119], a[30:31], v[72:75]// 00000000AB08: D3D70048 1D223D76
	v_mfma_i32_16x16x32_i8 v[80:83], a[120:121], a[24:25], v[80:83]// 00000000AB10: D3D70050 1D423178
	buffer_load_dwordx4 a[76:79], v48, s[24:27], 0 offen offset:1024// 00000000AB18: E05C1400 80864C30
	v_mfma_i32_16x16x32_i8 v[80:83], a[122:123], a[26:27], v[80:83]// 00000000AB20: D3D70050 1D42357A
	v_mfma_i32_16x16x32_i8 v[80:83], a[124:125], a[28:29], v[80:83]// 00000000AB28: D3D70050 1D42397C
	v_mfma_i32_16x16x32_i8 v[80:83], a[126:127], a[30:31], v[80:83]// 00000000AB30: D3D70050 1D423D7E
	v_mfma_i32_16x16x32_i8 v[88:91], a[128:129], a[24:25], v[88:91]// 00000000AB38: D3D70058 1D623180
	buffer_load_dwordx4 a[80:83], v49, s[24:27], 0 offen       // 00000000AB40: E05C1000 80865031
	v_mfma_i32_16x16x32_i8 v[88:91], a[130:131], a[26:27], v[88:91]// 00000000AB48: D3D70058 1D623582
	v_mfma_i32_16x16x32_i8 v[88:91], a[132:133], a[28:29], v[88:91]// 00000000AB50: D3D70058 1D623984
	v_mfma_i32_16x16x32_i8 v[88:91], a[134:135], a[30:31], v[88:91]// 00000000AB58: D3D70058 1D623D86
	v_mfma_i32_16x16x32_i8 v[96:99], a[136:137], a[24:25], v[96:99]// 00000000AB60: D3D70060 1D823188
	buffer_load_dwordx4 a[84:87], v49, s[24:27], 0 offen offset:1024// 00000000AB68: E05C1400 80865431
	v_mfma_i32_16x16x32_i8 v[96:99], a[138:139], a[26:27], v[96:99]// 00000000AB70: D3D70060 1D82358A
	v_mfma_i32_16x16x32_i8 v[96:99], a[140:141], a[28:29], v[96:99]// 00000000AB78: D3D70060 1D82398C
	v_mfma_i32_16x16x32_i8 v[96:99], a[142:143], a[30:31], v[96:99]// 00000000AB80: D3D70060 1D823D8E
	v_mfma_i32_16x16x32_i8 v[104:107], a[144:145], a[24:25], v[104:107]// 00000000AB88: D3D70068 1DA23190
	buffer_load_dwordx4 a[88:91], v50, s[24:27], 0 offen       // 00000000AB90: E05C1000 80865832
	v_mfma_i32_16x16x32_i8 v[104:107], a[146:147], a[26:27], v[104:107]// 00000000AB98: D3D70068 1DA23592
	v_mfma_i32_16x16x32_i8 v[104:107], a[148:149], a[28:29], v[104:107]// 00000000ABA0: D3D70068 1DA23994
	v_mfma_i32_16x16x32_i8 v[104:107], a[150:151], a[30:31], v[104:107]// 00000000ABA8: D3D70068 1DA23D96
	v_mfma_i32_16x16x32_i8 v[112:115], a[152:153], a[24:25], v[112:115]// 00000000ABB0: D3D70070 1DC23198
	buffer_load_dwordx4 a[92:95], v50, s[24:27], 0 offen offset:1024// 00000000ABB8: E05C1400 80865C32
	buffer_load_dword v39, s[20:23], 0 offen lds               // 00000000ABC0: E0511000 80050027
	s_add_u32 m0, 0x100, s49                                   // 00000000ABC8: 807C31FF 00000100
	v_mfma_i32_16x16x32_i8 v[112:115], a[154:155], a[26:27], v[112:115]// 00000000ABD0: D3D70070 1DC2359A
	v_mfma_i32_16x16x32_i8 v[112:115], a[156:157], a[28:29], v[112:115]// 00000000ABD8: D3D70070 1DC2399C
	buffer_load_dword v40, s[20:23], 0 offen lds               // 00000000ABE0: E0511000 80050028
	s_add_u32 m0, 0x200, s49                                   // 00000000ABE8: 807C31FF 00000200
	v_mfma_i32_16x16x32_i8 v[112:115], a[158:159], a[30:31], v[112:115]// 00000000ABF0: D3D70070 1DC23D9E
	buffer_load_dword v41, s[20:23], 0 offen lds               // 00000000ABF8: E0511000 80050029
	s_add_u32 m0, 0x300, s49                                   // 00000000AC00: 807C31FF 00000300
	buffer_load_dword v42, s[20:23], 0 offen lds               // 00000000AC08: E0511000 8005002A
	s_add_u32 m0, 0, s50                                       // 00000000AC10: 807C3280
	s_waitcnt vmcnt(20)                                        // 00000000AC14: BF8C4F74
	s_barrier                                                  // 00000000AC18: BF8A0000
	v_mfma_i32_16x16x32_i8 v[116:119], a[160:161], a[16:17], v[116:119]// 00000000AC1C: D3D70074 1DD221A0
	buffer_load_dwordx4 a[96:99], v43, s[84:87], 0 offen       // 00000000AC24: E05C1000 8095602B
	v_mfma_i32_16x16x32_i8 v[116:119], a[162:163], a[18:19], v[116:119]// 00000000AC2C: D3D70074 1DD225A2
	v_mfma_i32_16x16x32_i8 v[116:119], a[164:165], a[20:21], v[116:119]// 00000000AC34: D3D70074 1DD229A4
	ds_read_b128 a[0:3], v2                                    // 00000000AC3C: DBFE0000 00000002
	ds_read_b128 a[4:7], v2 offset:64                          // 00000000AC44: DBFE0040 04000002
	v_mfma_i32_16x16x32_i8 v[116:119], a[166:167], a[22:23], v[116:119]// 00000000AC4C: D3D70074 1DD22DA6
	v_mfma_i32_16x16x32_i8 v[124:127], a[168:169], a[16:17], v[124:127]// 00000000AC54: D3D7007C 1DF221A8
	buffer_load_dwordx4 a[100:103], v43, s[84:87], 0 offen offset:1024// 00000000AC5C: E05C1400 8095642B
	v_mfma_i32_16x16x32_i8 v[124:127], a[170:171], a[18:19], v[124:127]// 00000000AC64: D3D7007C 1DF225AA
	v_mfma_i32_16x16x32_i8 v[124:127], a[172:173], a[20:21], v[124:127]// 00000000AC6C: D3D7007C 1DF229AC
	ds_read_b128 a[8:11], v2 offset:512                        // 00000000AC74: DBFE0200 08000002
	ds_read_b128 a[12:15], v2 offset:576                       // 00000000AC7C: DBFE0240 0C000002
	v_mfma_i32_16x16x32_i8 v[124:127], a[174:175], a[22:23], v[124:127]// 00000000AC84: D3D7007C 1DF22DAE
	v_mfma_i32_16x16x32_i8 v[132:135], a[176:177], a[16:17], v[132:135]// 00000000AC8C: D3D70084 1E1221B0
	buffer_load_dwordx4 a[104:107], v44, s[84:87], 0 offen     // 00000000AC94: E05C1000 8095682C
	v_mfma_i32_16x16x32_i8 v[132:135], a[178:179], a[18:19], v[132:135]// 00000000AC9C: D3D70084 1E1225B2
	v_mfma_i32_16x16x32_i8 v[132:135], a[180:181], a[20:21], v[132:135]// 00000000ACA4: D3D70084 1E1229B4
	v_mfma_i32_16x16x32_i8 v[132:135], a[182:183], a[22:23], v[132:135]// 00000000ACAC: D3D70084 1E122DB6
	v_mfma_i32_16x16x32_i8 v[140:143], a[184:185], a[16:17], v[140:143]// 00000000ACB4: D3D7008C 1E3221B8
	buffer_load_dwordx4 a[108:111], v44, s[84:87], 0 offen offset:1024// 00000000ACBC: E05C1400 80956C2C
	v_mfma_i32_16x16x32_i8 v[140:143], a[186:187], a[18:19], v[140:143]// 00000000ACC4: D3D7008C 1E3225BA
	v_mfma_i32_16x16x32_i8 v[140:143], a[188:189], a[20:21], v[140:143]// 00000000ACCC: D3D7008C 1E3229BC
	v_mfma_i32_16x16x32_i8 v[140:143], a[190:191], a[22:23], v[140:143]// 00000000ACD4: D3D7008C 1E322DBE
	v_mfma_i32_16x16x32_i8 v[148:151], a[192:193], a[16:17], v[148:151]// 00000000ACDC: D3D70094 1E5221C0
	buffer_load_dwordx4 a[112:115], v45, s[84:87], 0 offen     // 00000000ACE4: E05C1000 8095702D
	v_mfma_i32_16x16x32_i8 v[148:151], a[194:195], a[18:19], v[148:151]// 00000000ACEC: D3D70094 1E5225C2
	v_mfma_i32_16x16x32_i8 v[148:151], a[196:197], a[20:21], v[148:151]// 00000000ACF4: D3D70094 1E5229C4
	v_mfma_i32_16x16x32_i8 v[148:151], a[198:199], a[22:23], v[148:151]// 00000000ACFC: D3D70094 1E522DC6
	v_mfma_i32_16x16x32_i8 v[156:159], a[200:201], a[16:17], v[156:159]// 00000000AD04: D3D7009C 1E7221C8
	buffer_load_dwordx4 a[116:119], v45, s[84:87], 0 offen offset:1024// 00000000AD0C: E05C1400 8095742D
	v_mfma_i32_16x16x32_i8 v[156:159], a[202:203], a[18:19], v[156:159]// 00000000AD14: D3D7009C 1E7225CA
	v_mfma_i32_16x16x32_i8 v[156:159], a[204:205], a[20:21], v[156:159]// 00000000AD1C: D3D7009C 1E7229CC
	v_mfma_i32_16x16x32_i8 v[156:159], a[206:207], a[22:23], v[156:159]// 00000000AD24: D3D7009C 1E722DCE
	v_mfma_i32_16x16x32_i8 v[164:167], a[208:209], a[16:17], v[164:167]// 00000000AD2C: D3D700A4 1E9221D0
	buffer_load_dwordx4 a[120:123], v46, s[84:87], 0 offen     // 00000000AD34: E05C1000 8095782E
	v_mfma_i32_16x16x32_i8 v[164:167], a[210:211], a[18:19], v[164:167]// 00000000AD3C: D3D700A4 1E9225D2
	v_mfma_i32_16x16x32_i8 v[164:167], a[212:213], a[20:21], v[164:167]// 00000000AD44: D3D700A4 1E9229D4
	v_mfma_i32_16x16x32_i8 v[164:167], a[214:215], a[22:23], v[164:167]// 00000000AD4C: D3D700A4 1E922DD6
	v_mfma_i32_16x16x32_i8 v[172:175], a[216:217], a[16:17], v[172:175]// 00000000AD54: D3D700AC 1EB221D8
	buffer_load_dwordx4 a[124:127], v46, s[84:87], 0 offen offset:1024// 00000000AD5C: E05C1400 80957C2E
	v_mfma_i32_16x16x32_i8 v[172:175], a[218:219], a[18:19], v[172:175]// 00000000AD64: D3D700AC 1EB225DA
	v_mfma_i32_16x16x32_i8 v[172:175], a[220:221], a[20:21], v[172:175]// 00000000AD6C: D3D700AC 1EB229DC
	v_mfma_i32_16x16x32_i8 v[172:175], a[222:223], a[22:23], v[172:175]// 00000000AD74: D3D700AC 1EB22DDE
	v_mfma_i32_16x16x32_i8 v[120:123], a[160:161], a[24:25], v[120:123]// 00000000AD7C: D3D70078 1DE231A0
	buffer_load_dwordx4 a[128:131], v47, s[84:87], 0 offen     // 00000000AD84: E05C1000 8095802F
	v_mfma_i32_16x16x32_i8 v[120:123], a[162:163], a[26:27], v[120:123]// 00000000AD8C: D3D70078 1DE235A2
	v_mfma_i32_16x16x32_i8 v[120:123], a[164:165], a[28:29], v[120:123]// 00000000AD94: D3D70078 1DE239A4
	v_mfma_i32_16x16x32_i8 v[120:123], a[166:167], a[30:31], v[120:123]// 00000000AD9C: D3D70078 1DE23DA6
	v_mfma_i32_16x16x32_i8 v[128:131], a[168:169], a[24:25], v[128:131]// 00000000ADA4: D3D70080 1E0231A8
	buffer_load_dwordx4 a[132:135], v47, s[84:87], 0 offen offset:1024// 00000000ADAC: E05C1400 8095842F
	v_mfma_i32_16x16x32_i8 v[128:131], a[170:171], a[26:27], v[128:131]// 00000000ADB4: D3D70080 1E0235AA
	v_mfma_i32_16x16x32_i8 v[128:131], a[172:173], a[28:29], v[128:131]// 00000000ADBC: D3D70080 1E0239AC
	v_mfma_i32_16x16x32_i8 v[128:131], a[174:175], a[30:31], v[128:131]// 00000000ADC4: D3D70080 1E023DAE
	v_mfma_i32_16x16x32_i8 v[136:139], a[176:177], a[24:25], v[136:139]// 00000000ADCC: D3D70088 1E2231B0
	buffer_load_dwordx4 a[136:139], v48, s[84:87], 0 offen     // 00000000ADD4: E05C1000 80958830
	v_mfma_i32_16x16x32_i8 v[136:139], a[178:179], a[26:27], v[136:139]// 00000000ADDC: D3D70088 1E2235B2
	v_mfma_i32_16x16x32_i8 v[136:139], a[180:181], a[28:29], v[136:139]// 00000000ADE4: D3D70088 1E2239B4
	v_mfma_i32_16x16x32_i8 v[136:139], a[182:183], a[30:31], v[136:139]// 00000000ADEC: D3D70088 1E223DB6
	v_mfma_i32_16x16x32_i8 v[144:147], a[184:185], a[24:25], v[144:147]// 00000000ADF4: D3D70090 1E4231B8
	buffer_load_dwordx4 a[140:143], v48, s[84:87], 0 offen offset:1024// 00000000ADFC: E05C1400 80958C30
	v_mfma_i32_16x16x32_i8 v[144:147], a[186:187], a[26:27], v[144:147]// 00000000AE04: D3D70090 1E4235BA
	v_mfma_i32_16x16x32_i8 v[144:147], a[188:189], a[28:29], v[144:147]// 00000000AE0C: D3D70090 1E4239BC
	v_mfma_i32_16x16x32_i8 v[144:147], a[190:191], a[30:31], v[144:147]// 00000000AE14: D3D70090 1E423DBE
	v_mfma_i32_16x16x32_i8 v[152:155], a[192:193], a[24:25], v[152:155]// 00000000AE1C: D3D70098 1E6231C0
	buffer_load_dwordx4 a[144:147], v49, s[84:87], 0 offen     // 00000000AE24: E05C1000 80959031
	v_mfma_i32_16x16x32_i8 v[152:155], a[194:195], a[26:27], v[152:155]// 00000000AE2C: D3D70098 1E6235C2
	v_mfma_i32_16x16x32_i8 v[152:155], a[196:197], a[28:29], v[152:155]// 00000000AE34: D3D70098 1E6239C4
	v_mfma_i32_16x16x32_i8 v[152:155], a[198:199], a[30:31], v[152:155]// 00000000AE3C: D3D70098 1E623DC6
	v_mfma_i32_16x16x32_i8 v[160:163], a[200:201], a[24:25], v[160:163]// 00000000AE44: D3D700A0 1E8231C8
	buffer_load_dwordx4 a[148:151], v49, s[84:87], 0 offen offset:1024// 00000000AE4C: E05C1400 80959431
	v_mfma_i32_16x16x32_i8 v[160:163], a[202:203], a[26:27], v[160:163]// 00000000AE54: D3D700A0 1E8235CA
	v_mfma_i32_16x16x32_i8 v[160:163], a[204:205], a[28:29], v[160:163]// 00000000AE5C: D3D700A0 1E8239CC
	v_mfma_i32_16x16x32_i8 v[160:163], a[206:207], a[30:31], v[160:163]// 00000000AE64: D3D700A0 1E823DCE
	v_mfma_i32_16x16x32_i8 v[168:171], a[208:209], a[24:25], v[168:171]// 00000000AE6C: D3D700A8 1EA231D0
	buffer_load_dwordx4 a[152:155], v50, s[84:87], 0 offen     // 00000000AE74: E05C1000 80959832
	s_add_u32 s60, 0x180, s80                                  // 00000000AE7C: 803C50FF 00000180
	s_cmp_lt_u32 s60, s81                                      // 00000000AE84: BF0A513C
	s_cselect_b32 s57, s57, 0                                  // 00000000AE88: 85398039
	v_mfma_i32_16x16x32_i8 v[168:171], a[210:211], a[26:27], v[168:171]// 00000000AE8C: D3D700A8 1EA235D2
	s_add_u32 s60, 0x100, s80                                  // 00000000AE94: 803C50FF 00000100
	s_cmp_lt_u32 s60, s81                                      // 00000000AE9C: BF0A513C
	s_cselect_b32 s58, s58, 0                                  // 00000000AEA0: 853A803A
	v_mfma_i32_16x16x32_i8 v[168:171], a[212:213], a[28:29], v[168:171]// 00000000AEA4: D3D700A8 1EA239D4
	s_add_u32 s60, 0x100, s80                                  // 00000000AEAC: 803C50FF 00000100
	s_cmp_lt_u32 s60, s81                                      // 00000000AEB4: BF0A513C
	s_cselect_b32 s83, s83, 0                                  // 00000000AEB8: 85538053
	v_mfma_i32_16x16x32_i8 v[168:171], a[214:215], a[30:31], v[168:171]// 00000000AEBC: D3D700A8 1EA23DD6
	s_add_u32 s24, s58, s24                                    // 00000000AEC4: 8018183A
	s_addc_u32 s25, 0, s25                                     // 00000000AEC8: 82191980
	v_mfma_i32_16x16x32_i8 v[176:179], a[216:217], a[24:25], v[176:179]// 00000000AECC: D3D700B0 1EC231D8
	buffer_load_dwordx4 a[156:159], v50, s[84:87], 0 offen offset:1024// 00000000AED4: E05C1400 80959C32
	s_add_u32 s20, s57, s20                                    // 00000000AEDC: 80141439
	s_addc_u32 s21, 0, s21                                     // 00000000AEE0: 82151580
	v_mfma_i32_16x16x32_i8 v[176:179], a[218:219], a[26:27], v[176:179]// 00000000AEE4: D3D700B0 1EC235DA
	s_add_u32 s84, s83, s84                                    // 00000000AEEC: 80545453
	s_addc_u32 s85, 0, s85                                     // 00000000AEF0: 82555580
	v_mfma_i32_16x16x32_i8 v[176:179], a[220:221], a[28:29], v[176:179]// 00000000AEF4: D3D700B0 1EC239DC
	v_mfma_i32_16x16x32_i8 v[176:179], a[222:223], a[30:31], v[176:179]// 00000000AEFC: D3D700B0 1EC23DDE
	s_addk_i32 s80, 0x80                                       // 00000000AF04: B7500080
	s_cmp_lt_i32 s80, s81                                      // 00000000AF08: BF045150
	s_cbranch_scc0 label_2148                                  // 00000000AF0C: BF840001
	s_branch label_18AD                                        // 00000000AF10: BF82F765

000000000000af14 <label_2148>:
	v_cvt_f32_i32_e32 v52, v52                                 // 00000000AF14: 7E680B34
	v_cvt_f32_i32_e32 v53, v53                                 // 00000000AF18: 7E6A0B35
	v_cvt_f32_i32_e32 v54, v54                                 // 00000000AF1C: 7E6C0B36
	v_cvt_f32_i32_e32 v55, v55                                 // 00000000AF20: 7E6E0B37
	v_mul_f32_dpp v52, v25, v52 row_newbcast:0 row_mask:0xf bank_mask:0xf// 00000000AF24: 0A6868FA FF015019
	v_mul_f32_dpp v53, v25, v53 row_newbcast:1 row_mask:0xf bank_mask:0xf// 00000000AF2C: 0A6A6AFA FF015119
	v_mul_f32_dpp v54, v25, v54 row_newbcast:2 row_mask:0xf bank_mask:0xf// 00000000AF34: 0A6C6CFA FF015219
	v_mul_f32_dpp v55, v25, v55 row_newbcast:3 row_mask:0xf bank_mask:0xf// 00000000AF3C: 0A6E6EFA FF015319
	v_cvt_f32_i32_e32 v56, v56                                 // 00000000AF44: 7E700B38
	v_cvt_f32_i32_e32 v57, v57                                 // 00000000AF48: 7E720B39
	v_cvt_f32_i32_e32 v58, v58                                 // 00000000AF4C: 7E740B3A
	v_cvt_f32_i32_e32 v59, v59                                 // 00000000AF50: 7E760B3B
	v_mul_f32_dpp v56, v25, v56 row_newbcast:0 row_mask:0xf bank_mask:0xf// 00000000AF54: 0A7070FA FF015019
	v_mul_f32_dpp v57, v25, v57 row_newbcast:1 row_mask:0xf bank_mask:0xf// 00000000AF5C: 0A7272FA FF015119
	v_mul_f32_dpp v58, v25, v58 row_newbcast:2 row_mask:0xf bank_mask:0xf// 00000000AF64: 0A7474FA FF015219
	v_mul_f32_dpp v59, v25, v59 row_newbcast:3 row_mask:0xf bank_mask:0xf// 00000000AF6C: 0A7676FA FF015319
	v_cvt_f32_i32_e32 v60, v60                                 // 00000000AF74: 7E780B3C
	v_cvt_f32_i32_e32 v61, v61                                 // 00000000AF78: 7E7A0B3D
	v_cvt_f32_i32_e32 v62, v62                                 // 00000000AF7C: 7E7C0B3E
	v_cvt_f32_i32_e32 v63, v63                                 // 00000000AF80: 7E7E0B3F
	v_mul_f32_dpp v60, v25, v60 row_newbcast:4 row_mask:0xf bank_mask:0xf// 00000000AF84: 0A7878FA FF015419
	v_mul_f32_dpp v61, v25, v61 row_newbcast:5 row_mask:0xf bank_mask:0xf// 00000000AF8C: 0A7A7AFA FF015519
	v_mul_f32_dpp v62, v25, v62 row_newbcast:6 row_mask:0xf bank_mask:0xf// 00000000AF94: 0A7C7CFA FF015619
	v_mul_f32_dpp v63, v25, v63 row_newbcast:7 row_mask:0xf bank_mask:0xf// 00000000AF9C: 0A7E7EFA FF015719
	v_cvt_f32_i32_e32 v64, v64                                 // 00000000AFA4: 7E800B40
	v_cvt_f32_i32_e32 v65, v65                                 // 00000000AFA8: 7E820B41
	v_cvt_f32_i32_e32 v66, v66                                 // 00000000AFAC: 7E840B42
	v_cvt_f32_i32_e32 v67, v67                                 // 00000000AFB0: 7E860B43
	v_mul_f32_dpp v64, v25, v64 row_newbcast:4 row_mask:0xf bank_mask:0xf// 00000000AFB4: 0A8080FA FF015419
	v_mul_f32_dpp v65, v25, v65 row_newbcast:5 row_mask:0xf bank_mask:0xf// 00000000AFBC: 0A8282FA FF015519
	v_mul_f32_dpp v66, v25, v66 row_newbcast:6 row_mask:0xf bank_mask:0xf// 00000000AFC4: 0A8484FA FF015619
	v_mul_f32_dpp v67, v25, v67 row_newbcast:7 row_mask:0xf bank_mask:0xf// 00000000AFCC: 0A8686FA FF015719
	v_cvt_f32_i32_e32 v68, v68                                 // 00000000AFD4: 7E880B44
	v_cvt_f32_i32_e32 v69, v69                                 // 00000000AFD8: 7E8A0B45
	v_cvt_f32_i32_e32 v70, v70                                 // 00000000AFDC: 7E8C0B46
	v_cvt_f32_i32_e32 v71, v71                                 // 00000000AFE0: 7E8E0B47
	v_mul_f32_dpp v68, v25, v68 row_newbcast:8 row_mask:0xf bank_mask:0xf// 00000000AFE4: 0A8888FA FF015819
	v_mul_f32_dpp v69, v25, v69 row_newbcast:9 row_mask:0xf bank_mask:0xf// 00000000AFEC: 0A8A8AFA FF015919
	v_mul_f32_dpp v70, v25, v70 row_newbcast:10 row_mask:0xf bank_mask:0xf// 00000000AFF4: 0A8C8CFA FF015A19
	v_mul_f32_dpp v71, v25, v71 row_newbcast:11 row_mask:0xf bank_mask:0xf// 00000000AFFC: 0A8E8EFA FF015B19
	v_cvt_f32_i32_e32 v72, v72                                 // 00000000B004: 7E900B48
	v_cvt_f32_i32_e32 v73, v73                                 // 00000000B008: 7E920B49
	v_cvt_f32_i32_e32 v74, v74                                 // 00000000B00C: 7E940B4A
	v_cvt_f32_i32_e32 v75, v75                                 // 00000000B010: 7E960B4B
	v_mul_f32_dpp v72, v25, v72 row_newbcast:8 row_mask:0xf bank_mask:0xf// 00000000B014: 0A9090FA FF015819
	v_mul_f32_dpp v73, v25, v73 row_newbcast:9 row_mask:0xf bank_mask:0xf// 00000000B01C: 0A9292FA FF015919
	v_mul_f32_dpp v74, v25, v74 row_newbcast:10 row_mask:0xf bank_mask:0xf// 00000000B024: 0A9494FA FF015A19
	v_mul_f32_dpp v75, v25, v75 row_newbcast:11 row_mask:0xf bank_mask:0xf// 00000000B02C: 0A9696FA FF015B19
	v_cvt_f32_i32_e32 v76, v76                                 // 00000000B034: 7E980B4C
	v_cvt_f32_i32_e32 v77, v77                                 // 00000000B038: 7E9A0B4D
	v_cvt_f32_i32_e32 v78, v78                                 // 00000000B03C: 7E9C0B4E
	v_cvt_f32_i32_e32 v79, v79                                 // 00000000B040: 7E9E0B4F
	v_mul_f32_dpp v76, v25, v76 row_newbcast:12 row_mask:0xf bank_mask:0xf// 00000000B044: 0A9898FA FF015C19
	v_mul_f32_dpp v77, v25, v77 row_newbcast:13 row_mask:0xf bank_mask:0xf// 00000000B04C: 0A9A9AFA FF015D19
	v_mul_f32_dpp v78, v25, v78 row_newbcast:14 row_mask:0xf bank_mask:0xf// 00000000B054: 0A9C9CFA FF015E19
	v_mul_f32_dpp v79, v25, v79 row_newbcast:15 row_mask:0xf bank_mask:0xf// 00000000B05C: 0A9E9EFA FF015F19
	v_cvt_f32_i32_e32 v80, v80                                 // 00000000B064: 7EA00B50
	v_cvt_f32_i32_e32 v81, v81                                 // 00000000B068: 7EA20B51
	v_cvt_f32_i32_e32 v82, v82                                 // 00000000B06C: 7EA40B52
	v_cvt_f32_i32_e32 v83, v83                                 // 00000000B070: 7EA60B53
	v_mul_f32_dpp v80, v25, v80 row_newbcast:12 row_mask:0xf bank_mask:0xf// 00000000B074: 0AA0A0FA FF015C19
	v_mul_f32_dpp v81, v25, v81 row_newbcast:13 row_mask:0xf bank_mask:0xf// 00000000B07C: 0AA2A2FA FF015D19
	v_mul_f32_dpp v82, v25, v82 row_newbcast:14 row_mask:0xf bank_mask:0xf// 00000000B084: 0AA4A4FA FF015E19
	v_mul_f32_dpp v83, v25, v83 row_newbcast:15 row_mask:0xf bank_mask:0xf// 00000000B08C: 0AA6A6FA FF015F19
	v_cvt_f32_i32_e32 v84, v84                                 // 00000000B094: 7EA80B54
	v_cvt_f32_i32_e32 v85, v85                                 // 00000000B098: 7EAA0B55
	v_cvt_f32_i32_e32 v86, v86                                 // 00000000B09C: 7EAC0B56
	v_cvt_f32_i32_e32 v87, v87                                 // 00000000B0A0: 7EAE0B57
	v_mul_f32_dpp v84, v26, v84 row_newbcast:0 row_mask:0xf bank_mask:0xf// 00000000B0A4: 0AA8A8FA FF01501A
	v_mul_f32_dpp v85, v26, v85 row_newbcast:1 row_mask:0xf bank_mask:0xf// 00000000B0AC: 0AAAAAFA FF01511A
	v_mul_f32_dpp v86, v26, v86 row_newbcast:2 row_mask:0xf bank_mask:0xf// 00000000B0B4: 0AACACFA FF01521A
	v_mul_f32_dpp v87, v26, v87 row_newbcast:3 row_mask:0xf bank_mask:0xf// 00000000B0BC: 0AAEAEFA FF01531A
	v_cvt_f32_i32_e32 v88, v88                                 // 00000000B0C4: 7EB00B58
	v_cvt_f32_i32_e32 v89, v89                                 // 00000000B0C8: 7EB20B59
	v_cvt_f32_i32_e32 v90, v90                                 // 00000000B0CC: 7EB40B5A
	v_cvt_f32_i32_e32 v91, v91                                 // 00000000B0D0: 7EB60B5B
	v_mul_f32_dpp v88, v26, v88 row_newbcast:0 row_mask:0xf bank_mask:0xf// 00000000B0D4: 0AB0B0FA FF01501A
	v_mul_f32_dpp v89, v26, v89 row_newbcast:1 row_mask:0xf bank_mask:0xf// 00000000B0DC: 0AB2B2FA FF01511A
	v_mul_f32_dpp v90, v26, v90 row_newbcast:2 row_mask:0xf bank_mask:0xf// 00000000B0E4: 0AB4B4FA FF01521A
	v_mul_f32_dpp v91, v26, v91 row_newbcast:3 row_mask:0xf bank_mask:0xf// 00000000B0EC: 0AB6B6FA FF01531A
	v_cvt_f32_i32_e32 v92, v92                                 // 00000000B0F4: 7EB80B5C
	v_cvt_f32_i32_e32 v93, v93                                 // 00000000B0F8: 7EBA0B5D
	v_cvt_f32_i32_e32 v94, v94                                 // 00000000B0FC: 7EBC0B5E
	v_cvt_f32_i32_e32 v95, v95                                 // 00000000B100: 7EBE0B5F
	v_mul_f32_dpp v92, v26, v92 row_newbcast:4 row_mask:0xf bank_mask:0xf// 00000000B104: 0AB8B8FA FF01541A
	v_mul_f32_dpp v93, v26, v93 row_newbcast:5 row_mask:0xf bank_mask:0xf// 00000000B10C: 0ABABAFA FF01551A
	v_mul_f32_dpp v94, v26, v94 row_newbcast:6 row_mask:0xf bank_mask:0xf// 00000000B114: 0ABCBCFA FF01561A
	v_mul_f32_dpp v95, v26, v95 row_newbcast:7 row_mask:0xf bank_mask:0xf// 00000000B11C: 0ABEBEFA FF01571A
	v_cvt_f32_i32_e32 v96, v96                                 // 00000000B124: 7EC00B60
	v_cvt_f32_i32_e32 v97, v97                                 // 00000000B128: 7EC20B61
	v_cvt_f32_i32_e32 v98, v98                                 // 00000000B12C: 7EC40B62
	v_cvt_f32_i32_e32 v99, v99                                 // 00000000B130: 7EC60B63
	v_mul_f32_dpp v96, v26, v96 row_newbcast:4 row_mask:0xf bank_mask:0xf// 00000000B134: 0AC0C0FA FF01541A
	v_mul_f32_dpp v97, v26, v97 row_newbcast:5 row_mask:0xf bank_mask:0xf// 00000000B13C: 0AC2C2FA FF01551A
	v_mul_f32_dpp v98, v26, v98 row_newbcast:6 row_mask:0xf bank_mask:0xf// 00000000B144: 0AC4C4FA FF01561A
	v_mul_f32_dpp v99, v26, v99 row_newbcast:7 row_mask:0xf bank_mask:0xf// 00000000B14C: 0AC6C6FA FF01571A
	v_cvt_f32_i32_e32 v100, v100                               // 00000000B154: 7EC80B64
	v_cvt_f32_i32_e32 v101, v101                               // 00000000B158: 7ECA0B65
	v_cvt_f32_i32_e32 v102, v102                               // 00000000B15C: 7ECC0B66
	v_cvt_f32_i32_e32 v103, v103                               // 00000000B160: 7ECE0B67
	v_mul_f32_dpp v100, v26, v100 row_newbcast:8 row_mask:0xf bank_mask:0xf// 00000000B164: 0AC8C8FA FF01581A
	v_mul_f32_dpp v101, v26, v101 row_newbcast:9 row_mask:0xf bank_mask:0xf// 00000000B16C: 0ACACAFA FF01591A
	v_mul_f32_dpp v102, v26, v102 row_newbcast:10 row_mask:0xf bank_mask:0xf// 00000000B174: 0ACCCCFA FF015A1A
	v_mul_f32_dpp v103, v26, v103 row_newbcast:11 row_mask:0xf bank_mask:0xf// 00000000B17C: 0ACECEFA FF015B1A
	v_cvt_f32_i32_e32 v104, v104                               // 00000000B184: 7ED00B68
	v_cvt_f32_i32_e32 v105, v105                               // 00000000B188: 7ED20B69
	v_cvt_f32_i32_e32 v106, v106                               // 00000000B18C: 7ED40B6A
	v_cvt_f32_i32_e32 v107, v107                               // 00000000B190: 7ED60B6B
	v_mul_f32_dpp v104, v26, v104 row_newbcast:8 row_mask:0xf bank_mask:0xf// 00000000B194: 0AD0D0FA FF01581A
	v_mul_f32_dpp v105, v26, v105 row_newbcast:9 row_mask:0xf bank_mask:0xf// 00000000B19C: 0AD2D2FA FF01591A
	v_mul_f32_dpp v106, v26, v106 row_newbcast:10 row_mask:0xf bank_mask:0xf// 00000000B1A4: 0AD4D4FA FF015A1A
	v_mul_f32_dpp v107, v26, v107 row_newbcast:11 row_mask:0xf bank_mask:0xf// 00000000B1AC: 0AD6D6FA FF015B1A
	v_cvt_f32_i32_e32 v108, v108                               // 00000000B1B4: 7ED80B6C
	v_cvt_f32_i32_e32 v109, v109                               // 00000000B1B8: 7EDA0B6D
	v_cvt_f32_i32_e32 v110, v110                               // 00000000B1BC: 7EDC0B6E
	v_cvt_f32_i32_e32 v111, v111                               // 00000000B1C0: 7EDE0B6F
	v_mul_f32_dpp v108, v26, v108 row_newbcast:12 row_mask:0xf bank_mask:0xf// 00000000B1C4: 0AD8D8FA FF015C1A
	v_mul_f32_dpp v109, v26, v109 row_newbcast:13 row_mask:0xf bank_mask:0xf// 00000000B1CC: 0ADADAFA FF015D1A
	v_mul_f32_dpp v110, v26, v110 row_newbcast:14 row_mask:0xf bank_mask:0xf// 00000000B1D4: 0ADCDCFA FF015E1A
	v_mul_f32_dpp v111, v26, v111 row_newbcast:15 row_mask:0xf bank_mask:0xf// 00000000B1DC: 0ADEDEFA FF015F1A
	v_cvt_f32_i32_e32 v112, v112                               // 00000000B1E4: 7EE00B70
	v_cvt_f32_i32_e32 v113, v113                               // 00000000B1E8: 7EE20B71
	v_cvt_f32_i32_e32 v114, v114                               // 00000000B1EC: 7EE40B72
	v_cvt_f32_i32_e32 v115, v115                               // 00000000B1F0: 7EE60B73
	v_mul_f32_dpp v112, v26, v112 row_newbcast:12 row_mask:0xf bank_mask:0xf// 00000000B1F4: 0AE0E0FA FF015C1A
	v_mul_f32_dpp v113, v26, v113 row_newbcast:13 row_mask:0xf bank_mask:0xf// 00000000B1FC: 0AE2E2FA FF015D1A
	v_mul_f32_dpp v114, v26, v114 row_newbcast:14 row_mask:0xf bank_mask:0xf// 00000000B204: 0AE4E4FA FF015E1A
	v_mul_f32_dpp v115, v26, v115 row_newbcast:15 row_mask:0xf bank_mask:0xf// 00000000B20C: 0AE6E6FA FF015F1A
	v_cvt_f32_i32_e32 v116, v116                               // 00000000B214: 7EE80B74
	v_cvt_f32_i32_e32 v117, v117                               // 00000000B218: 7EEA0B75
	v_cvt_f32_i32_e32 v118, v118                               // 00000000B21C: 7EEC0B76
	v_cvt_f32_i32_e32 v119, v119                               // 00000000B220: 7EEE0B77
	v_mul_f32_dpp v116, v28, v116 row_newbcast:0 row_mask:0xf bank_mask:0xf// 00000000B224: 0AE8E8FA FF01501C
	v_mul_f32_dpp v117, v28, v117 row_newbcast:1 row_mask:0xf bank_mask:0xf// 00000000B22C: 0AEAEAFA FF01511C
	v_mul_f32_dpp v118, v28, v118 row_newbcast:2 row_mask:0xf bank_mask:0xf// 00000000B234: 0AECECFA FF01521C
	v_mul_f32_dpp v119, v28, v119 row_newbcast:3 row_mask:0xf bank_mask:0xf// 00000000B23C: 0AEEEEFA FF01531C
	v_cvt_f32_i32_e32 v120, v120                               // 00000000B244: 7EF00B78
	v_cvt_f32_i32_e32 v121, v121                               // 00000000B248: 7EF20B79
	v_cvt_f32_i32_e32 v122, v122                               // 00000000B24C: 7EF40B7A
	v_cvt_f32_i32_e32 v123, v123                               // 00000000B250: 7EF60B7B
	v_mul_f32_dpp v120, v28, v120 row_newbcast:0 row_mask:0xf bank_mask:0xf// 00000000B254: 0AF0F0FA FF01501C
	v_mul_f32_dpp v121, v28, v121 row_newbcast:1 row_mask:0xf bank_mask:0xf// 00000000B25C: 0AF2F2FA FF01511C
	v_mul_f32_dpp v122, v28, v122 row_newbcast:2 row_mask:0xf bank_mask:0xf// 00000000B264: 0AF4F4FA FF01521C
	v_mul_f32_dpp v123, v28, v123 row_newbcast:3 row_mask:0xf bank_mask:0xf// 00000000B26C: 0AF6F6FA FF01531C
	v_cvt_f32_i32_e32 v124, v124                               // 00000000B274: 7EF80B7C
	v_cvt_f32_i32_e32 v125, v125                               // 00000000B278: 7EFA0B7D
	v_cvt_f32_i32_e32 v126, v126                               // 00000000B27C: 7EFC0B7E
	v_cvt_f32_i32_e32 v127, v127                               // 00000000B280: 7EFE0B7F
	v_mul_f32_dpp v124, v28, v124 row_newbcast:4 row_mask:0xf bank_mask:0xf// 00000000B284: 0AF8F8FA FF01541C
	v_mul_f32_dpp v125, v28, v125 row_newbcast:5 row_mask:0xf bank_mask:0xf// 00000000B28C: 0AFAFAFA FF01551C
	v_mul_f32_dpp v126, v28, v126 row_newbcast:6 row_mask:0xf bank_mask:0xf// 00000000B294: 0AFCFCFA FF01561C
	v_mul_f32_dpp v127, v28, v127 row_newbcast:7 row_mask:0xf bank_mask:0xf// 00000000B29C: 0AFEFEFA FF01571C
	v_cvt_f32_i32_e32 v128, v128                               // 00000000B2A4: 7F000B80
	v_cvt_f32_i32_e32 v129, v129                               // 00000000B2A8: 7F020B81
	v_cvt_f32_i32_e32 v130, v130                               // 00000000B2AC: 7F040B82
	v_cvt_f32_i32_e32 v131, v131                               // 00000000B2B0: 7F060B83
	v_mul_f32_dpp v128, v28, v128 row_newbcast:4 row_mask:0xf bank_mask:0xf// 00000000B2B4: 0B0100FA FF01541C
	v_mul_f32_dpp v129, v28, v129 row_newbcast:5 row_mask:0xf bank_mask:0xf// 00000000B2BC: 0B0302FA FF01551C
	v_mul_f32_dpp v130, v28, v130 row_newbcast:6 row_mask:0xf bank_mask:0xf// 00000000B2C4: 0B0504FA FF01561C
	v_mul_f32_dpp v131, v28, v131 row_newbcast:7 row_mask:0xf bank_mask:0xf// 00000000B2CC: 0B0706FA FF01571C
	v_cvt_f32_i32_e32 v132, v132                               // 00000000B2D4: 7F080B84
	v_cvt_f32_i32_e32 v133, v133                               // 00000000B2D8: 7F0A0B85
	v_cvt_f32_i32_e32 v134, v134                               // 00000000B2DC: 7F0C0B86
	v_cvt_f32_i32_e32 v135, v135                               // 00000000B2E0: 7F0E0B87
	v_mul_f32_dpp v132, v28, v132 row_newbcast:8 row_mask:0xf bank_mask:0xf// 00000000B2E4: 0B0908FA FF01581C
	v_mul_f32_dpp v133, v28, v133 row_newbcast:9 row_mask:0xf bank_mask:0xf// 00000000B2EC: 0B0B0AFA FF01591C
	v_mul_f32_dpp v134, v28, v134 row_newbcast:10 row_mask:0xf bank_mask:0xf// 00000000B2F4: 0B0D0CFA FF015A1C
	v_mul_f32_dpp v135, v28, v135 row_newbcast:11 row_mask:0xf bank_mask:0xf// 00000000B2FC: 0B0F0EFA FF015B1C
	v_cvt_f32_i32_e32 v136, v136                               // 00000000B304: 7F100B88
	v_cvt_f32_i32_e32 v137, v137                               // 00000000B308: 7F120B89
	v_cvt_f32_i32_e32 v138, v138                               // 00000000B30C: 7F140B8A
	v_cvt_f32_i32_e32 v139, v139                               // 00000000B310: 7F160B8B
	v_mul_f32_dpp v136, v28, v136 row_newbcast:8 row_mask:0xf bank_mask:0xf// 00000000B314: 0B1110FA FF01581C
	v_mul_f32_dpp v137, v28, v137 row_newbcast:9 row_mask:0xf bank_mask:0xf// 00000000B31C: 0B1312FA FF01591C
	v_mul_f32_dpp v138, v28, v138 row_newbcast:10 row_mask:0xf bank_mask:0xf// 00000000B324: 0B1514FA FF015A1C
	v_mul_f32_dpp v139, v28, v139 row_newbcast:11 row_mask:0xf bank_mask:0xf// 00000000B32C: 0B1716FA FF015B1C
	v_cvt_f32_i32_e32 v140, v140                               // 00000000B334: 7F180B8C
	v_cvt_f32_i32_e32 v141, v141                               // 00000000B338: 7F1A0B8D
	v_cvt_f32_i32_e32 v142, v142                               // 00000000B33C: 7F1C0B8E
	v_cvt_f32_i32_e32 v143, v143                               // 00000000B340: 7F1E0B8F
	v_mul_f32_dpp v140, v28, v140 row_newbcast:12 row_mask:0xf bank_mask:0xf// 00000000B344: 0B1918FA FF015C1C
	v_mul_f32_dpp v141, v28, v141 row_newbcast:13 row_mask:0xf bank_mask:0xf// 00000000B34C: 0B1B1AFA FF015D1C
	v_mul_f32_dpp v142, v28, v142 row_newbcast:14 row_mask:0xf bank_mask:0xf// 00000000B354: 0B1D1CFA FF015E1C
	v_mul_f32_dpp v143, v28, v143 row_newbcast:15 row_mask:0xf bank_mask:0xf// 00000000B35C: 0B1F1EFA FF015F1C
	v_cvt_f32_i32_e32 v144, v144                               // 00000000B364: 7F200B90
	v_cvt_f32_i32_e32 v145, v145                               // 00000000B368: 7F220B91
	v_cvt_f32_i32_e32 v146, v146                               // 00000000B36C: 7F240B92
	v_cvt_f32_i32_e32 v147, v147                               // 00000000B370: 7F260B93
	v_mul_f32_dpp v144, v28, v144 row_newbcast:12 row_mask:0xf bank_mask:0xf// 00000000B374: 0B2120FA FF015C1C
	v_mul_f32_dpp v145, v28, v145 row_newbcast:13 row_mask:0xf bank_mask:0xf// 00000000B37C: 0B2322FA FF015D1C
	v_mul_f32_dpp v146, v28, v146 row_newbcast:14 row_mask:0xf bank_mask:0xf// 00000000B384: 0B2524FA FF015E1C
	v_mul_f32_dpp v147, v28, v147 row_newbcast:15 row_mask:0xf bank_mask:0xf// 00000000B38C: 0B2726FA FF015F1C
	v_cvt_f32_i32_e32 v148, v148                               // 00000000B394: 7F280B94
	v_cvt_f32_i32_e32 v149, v149                               // 00000000B398: 7F2A0B95
	v_cvt_f32_i32_e32 v150, v150                               // 00000000B39C: 7F2C0B96
	v_cvt_f32_i32_e32 v151, v151                               // 00000000B3A0: 7F2E0B97
	v_mul_f32_dpp v148, v29, v148 row_newbcast:0 row_mask:0xf bank_mask:0xf// 00000000B3A4: 0B2928FA FF01501D
	v_mul_f32_dpp v149, v29, v149 row_newbcast:1 row_mask:0xf bank_mask:0xf// 00000000B3AC: 0B2B2AFA FF01511D
	v_mul_f32_dpp v150, v29, v150 row_newbcast:2 row_mask:0xf bank_mask:0xf// 00000000B3B4: 0B2D2CFA FF01521D
	v_mul_f32_dpp v151, v29, v151 row_newbcast:3 row_mask:0xf bank_mask:0xf// 00000000B3BC: 0B2F2EFA FF01531D
	v_cvt_f32_i32_e32 v152, v152                               // 00000000B3C4: 7F300B98
	v_cvt_f32_i32_e32 v153, v153                               // 00000000B3C8: 7F320B99
	v_cvt_f32_i32_e32 v154, v154                               // 00000000B3CC: 7F340B9A
	v_cvt_f32_i32_e32 v155, v155                               // 00000000B3D0: 7F360B9B
	v_mul_f32_dpp v152, v29, v152 row_newbcast:0 row_mask:0xf bank_mask:0xf// 00000000B3D4: 0B3130FA FF01501D
	v_mul_f32_dpp v153, v29, v153 row_newbcast:1 row_mask:0xf bank_mask:0xf// 00000000B3DC: 0B3332FA FF01511D
	v_mul_f32_dpp v154, v29, v154 row_newbcast:2 row_mask:0xf bank_mask:0xf// 00000000B3E4: 0B3534FA FF01521D
	v_mul_f32_dpp v155, v29, v155 row_newbcast:3 row_mask:0xf bank_mask:0xf// 00000000B3EC: 0B3736FA FF01531D
	v_cvt_f32_i32_e32 v156, v156                               // 00000000B3F4: 7F380B9C
	v_cvt_f32_i32_e32 v157, v157                               // 00000000B3F8: 7F3A0B9D
	v_cvt_f32_i32_e32 v158, v158                               // 00000000B3FC: 7F3C0B9E
	v_cvt_f32_i32_e32 v159, v159                               // 00000000B400: 7F3E0B9F
	v_mul_f32_dpp v156, v29, v156 row_newbcast:4 row_mask:0xf bank_mask:0xf// 00000000B404: 0B3938FA FF01541D
	v_mul_f32_dpp v157, v29, v157 row_newbcast:5 row_mask:0xf bank_mask:0xf// 00000000B40C: 0B3B3AFA FF01551D
	v_mul_f32_dpp v158, v29, v158 row_newbcast:6 row_mask:0xf bank_mask:0xf// 00000000B414: 0B3D3CFA FF01561D
	v_mul_f32_dpp v159, v29, v159 row_newbcast:7 row_mask:0xf bank_mask:0xf// 00000000B41C: 0B3F3EFA FF01571D
	v_cvt_f32_i32_e32 v160, v160                               // 00000000B424: 7F400BA0
	v_cvt_f32_i32_e32 v161, v161                               // 00000000B428: 7F420BA1
	v_cvt_f32_i32_e32 v162, v162                               // 00000000B42C: 7F440BA2
	v_cvt_f32_i32_e32 v163, v163                               // 00000000B430: 7F460BA3
	v_mul_f32_dpp v160, v29, v160 row_newbcast:4 row_mask:0xf bank_mask:0xf// 00000000B434: 0B4140FA FF01541D
	v_mul_f32_dpp v161, v29, v161 row_newbcast:5 row_mask:0xf bank_mask:0xf// 00000000B43C: 0B4342FA FF01551D
	v_mul_f32_dpp v162, v29, v162 row_newbcast:6 row_mask:0xf bank_mask:0xf// 00000000B444: 0B4544FA FF01561D
	v_mul_f32_dpp v163, v29, v163 row_newbcast:7 row_mask:0xf bank_mask:0xf// 00000000B44C: 0B4746FA FF01571D
	v_cvt_f32_i32_e32 v164, v164                               // 00000000B454: 7F480BA4
	v_cvt_f32_i32_e32 v165, v165                               // 00000000B458: 7F4A0BA5
	v_cvt_f32_i32_e32 v166, v166                               // 00000000B45C: 7F4C0BA6
	v_cvt_f32_i32_e32 v167, v167                               // 00000000B460: 7F4E0BA7
	v_mul_f32_dpp v164, v29, v164 row_newbcast:8 row_mask:0xf bank_mask:0xf// 00000000B464: 0B4948FA FF01581D
	v_mul_f32_dpp v165, v29, v165 row_newbcast:9 row_mask:0xf bank_mask:0xf// 00000000B46C: 0B4B4AFA FF01591D
	v_mul_f32_dpp v166, v29, v166 row_newbcast:10 row_mask:0xf bank_mask:0xf// 00000000B474: 0B4D4CFA FF015A1D
	v_mul_f32_dpp v167, v29, v167 row_newbcast:11 row_mask:0xf bank_mask:0xf// 00000000B47C: 0B4F4EFA FF015B1D
	v_cvt_f32_i32_e32 v168, v168                               // 00000000B484: 7F500BA8
	v_cvt_f32_i32_e32 v169, v169                               // 00000000B488: 7F520BA9
	v_cvt_f32_i32_e32 v170, v170                               // 00000000B48C: 7F540BAA
	v_cvt_f32_i32_e32 v171, v171                               // 00000000B490: 7F560BAB
	v_mul_f32_dpp v168, v29, v168 row_newbcast:8 row_mask:0xf bank_mask:0xf// 00000000B494: 0B5150FA FF01581D
	v_mul_f32_dpp v169, v29, v169 row_newbcast:9 row_mask:0xf bank_mask:0xf// 00000000B49C: 0B5352FA FF01591D
	v_mul_f32_dpp v170, v29, v170 row_newbcast:10 row_mask:0xf bank_mask:0xf// 00000000B4A4: 0B5554FA FF015A1D
	v_mul_f32_dpp v171, v29, v171 row_newbcast:11 row_mask:0xf bank_mask:0xf// 00000000B4AC: 0B5756FA FF015B1D
	v_cvt_f32_i32_e32 v172, v172                               // 00000000B4B4: 7F580BAC
	v_cvt_f32_i32_e32 v173, v173                               // 00000000B4B8: 7F5A0BAD
	v_cvt_f32_i32_e32 v174, v174                               // 00000000B4BC: 7F5C0BAE
	v_cvt_f32_i32_e32 v175, v175                               // 00000000B4C0: 7F5E0BAF
	v_mul_f32_dpp v172, v29, v172 row_newbcast:12 row_mask:0xf bank_mask:0xf// 00000000B4C4: 0B5958FA FF015C1D
	v_mul_f32_dpp v173, v29, v173 row_newbcast:13 row_mask:0xf bank_mask:0xf// 00000000B4CC: 0B5B5AFA FF015D1D
	v_mul_f32_dpp v174, v29, v174 row_newbcast:14 row_mask:0xf bank_mask:0xf// 00000000B4D4: 0B5D5CFA FF015E1D
	v_mul_f32_dpp v175, v29, v175 row_newbcast:15 row_mask:0xf bank_mask:0xf// 00000000B4DC: 0B5F5EFA FF015F1D
	v_cvt_f32_i32_e32 v176, v176                               // 00000000B4E4: 7F600BB0
	v_cvt_f32_i32_e32 v177, v177                               // 00000000B4E8: 7F620BB1
	v_cvt_f32_i32_e32 v178, v178                               // 00000000B4EC: 7F640BB2
	v_cvt_f32_i32_e32 v179, v179                               // 00000000B4F0: 7F660BB3
	v_mul_f32_dpp v176, v29, v176 row_newbcast:12 row_mask:0xf bank_mask:0xf// 00000000B4F4: 0B6160FA FF015C1D
	v_mul_f32_dpp v177, v29, v177 row_newbcast:13 row_mask:0xf bank_mask:0xf// 00000000B4FC: 0B6362FA FF015D1D
	v_mul_f32_dpp v178, v29, v178 row_newbcast:14 row_mask:0xf bank_mask:0xf// 00000000B504: 0B6564FA FF015E1D
	v_mul_f32_dpp v179, v29, v179 row_newbcast:15 row_mask:0xf bank_mask:0xf// 00000000B50C: 0B6766FA FF015F1D
	v_mov_b32_e32 v4, v33                                      // 00000000B514: 7E080321
	v_mov_b32_e32 v5, v4                                       // 00000000B518: 7E0A0304
	v_pk_mul_f32 v[52:53], v[4:5], v[52:53]                    // 00000000B51C: D3B14034 18026904
	v_pk_mul_f32 v[116:117], v[4:5], v[116:117]                // 00000000B524: D3B14074 1802E904
	v_pk_mul_f32 v[54:55], v[4:5], v[54:55]                    // 00000000B52C: D3B14036 18026D04
	v_pk_mul_f32 v[118:119], v[4:5], v[118:119]                // 00000000B534: D3B14076 1802ED04
	v_pk_mul_f32 v[60:61], v[4:5], v[60:61]                    // 00000000B53C: D3B1403C 18027904
	v_pk_mul_f32 v[124:125], v[4:5], v[124:125]                // 00000000B544: D3B1407C 1802F904
	v_pk_mul_f32 v[62:63], v[4:5], v[62:63]                    // 00000000B54C: D3B1403E 18027D04
	v_pk_mul_f32 v[126:127], v[4:5], v[126:127]                // 00000000B554: D3B1407E 1802FD04
	v_pk_mul_f32 v[68:69], v[4:5], v[68:69]                    // 00000000B55C: D3B14044 18028904
	v_pk_mul_f32 v[132:133], v[4:5], v[132:133]                // 00000000B564: D3B14084 18030904
	v_pk_mul_f32 v[70:71], v[4:5], v[70:71]                    // 00000000B56C: D3B14046 18028D04
	v_pk_mul_f32 v[134:135], v[4:5], v[134:135]                // 00000000B574: D3B14086 18030D04
	v_pk_mul_f32 v[76:77], v[4:5], v[76:77]                    // 00000000B57C: D3B1404C 18029904
	v_pk_mul_f32 v[140:141], v[4:5], v[140:141]                // 00000000B584: D3B1408C 18031904
	v_pk_mul_f32 v[78:79], v[4:5], v[78:79]                    // 00000000B58C: D3B1404E 18029D04
	v_pk_mul_f32 v[142:143], v[4:5], v[142:143]                // 00000000B594: D3B1408E 18031D04
	v_pk_mul_f32 v[84:85], v[4:5], v[84:85]                    // 00000000B59C: D3B14054 1802A904
	v_pk_mul_f32 v[148:149], v[4:5], v[148:149]                // 00000000B5A4: D3B14094 18032904
	v_pk_mul_f32 v[86:87], v[4:5], v[86:87]                    // 00000000B5AC: D3B14056 1802AD04
	v_pk_mul_f32 v[150:151], v[4:5], v[150:151]                // 00000000B5B4: D3B14096 18032D04
	v_pk_mul_f32 v[92:93], v[4:5], v[92:93]                    // 00000000B5BC: D3B1405C 1802B904
	v_pk_mul_f32 v[156:157], v[4:5], v[156:157]                // 00000000B5C4: D3B1409C 18033904
	v_pk_mul_f32 v[94:95], v[4:5], v[94:95]                    // 00000000B5CC: D3B1405E 1802BD04
	v_pk_mul_f32 v[158:159], v[4:5], v[158:159]                // 00000000B5D4: D3B1409E 18033D04
	v_pk_mul_f32 v[100:101], v[4:5], v[100:101]                // 00000000B5DC: D3B14064 1802C904
	v_pk_mul_f32 v[164:165], v[4:5], v[164:165]                // 00000000B5E4: D3B140A4 18034904
	v_pk_mul_f32 v[102:103], v[4:5], v[102:103]                // 00000000B5EC: D3B14066 1802CD04
	v_pk_mul_f32 v[166:167], v[4:5], v[166:167]                // 00000000B5F4: D3B140A6 18034D04
	v_pk_mul_f32 v[108:109], v[4:5], v[108:109]                // 00000000B5FC: D3B1406C 1802D904
	v_pk_mul_f32 v[172:173], v[4:5], v[172:173]                // 00000000B604: D3B140AC 18035904
	v_pk_mul_f32 v[110:111], v[4:5], v[110:111]                // 00000000B60C: D3B1406E 1802DD04
	v_pk_mul_f32 v[174:175], v[4:5], v[174:175]                // 00000000B614: D3B140AE 18035D04
	v_mov_b32_e32 v4, v34                                      // 00000000B61C: 7E080322
	v_mov_b32_e32 v5, v4                                       // 00000000B620: 7E0A0304
	v_pk_mul_f32 v[56:57], v[4:5], v[56:57]                    // 00000000B624: D3B14038 18027104
	v_pk_mul_f32 v[120:121], v[4:5], v[120:121]                // 00000000B62C: D3B14078 1802F104
	v_pk_mul_f32 v[58:59], v[4:5], v[58:59]                    // 00000000B634: D3B1403A 18027504
	v_pk_mul_f32 v[122:123], v[4:5], v[122:123]                // 00000000B63C: D3B1407A 1802F504
	v_pk_mul_f32 v[64:65], v[4:5], v[64:65]                    // 00000000B644: D3B14040 18028104
	v_pk_mul_f32 v[128:129], v[4:5], v[128:129]                // 00000000B64C: D3B14080 18030104
	v_pk_mul_f32 v[66:67], v[4:5], v[66:67]                    // 00000000B654: D3B14042 18028504
	v_pk_mul_f32 v[130:131], v[4:5], v[130:131]                // 00000000B65C: D3B14082 18030504
	v_pk_mul_f32 v[72:73], v[4:5], v[72:73]                    // 00000000B664: D3B14048 18029104
	v_pk_mul_f32 v[136:137], v[4:5], v[136:137]                // 00000000B66C: D3B14088 18031104
	v_pk_mul_f32 v[74:75], v[4:5], v[74:75]                    // 00000000B674: D3B1404A 18029504
	v_pk_mul_f32 v[138:139], v[4:5], v[138:139]                // 00000000B67C: D3B1408A 18031504
	v_pk_mul_f32 v[80:81], v[4:5], v[80:81]                    // 00000000B684: D3B14050 1802A104
	v_pk_mul_f32 v[144:145], v[4:5], v[144:145]                // 00000000B68C: D3B14090 18032104
	v_pk_mul_f32 v[82:83], v[4:5], v[82:83]                    // 00000000B694: D3B14052 1802A504
	v_pk_mul_f32 v[146:147], v[4:5], v[146:147]                // 00000000B69C: D3B14092 18032504
	v_pk_mul_f32 v[88:89], v[4:5], v[88:89]                    // 00000000B6A4: D3B14058 1802B104
	v_pk_mul_f32 v[152:153], v[4:5], v[152:153]                // 00000000B6AC: D3B14098 18033104
	v_pk_mul_f32 v[90:91], v[4:5], v[90:91]                    // 00000000B6B4: D3B1405A 1802B504
	v_pk_mul_f32 v[154:155], v[4:5], v[154:155]                // 00000000B6BC: D3B1409A 18033504
	v_pk_mul_f32 v[96:97], v[4:5], v[96:97]                    // 00000000B6C4: D3B14060 1802C104
	v_pk_mul_f32 v[160:161], v[4:5], v[160:161]                // 00000000B6CC: D3B140A0 18034104
	v_pk_mul_f32 v[98:99], v[4:5], v[98:99]                    // 00000000B6D4: D3B14062 1802C504
	v_pk_mul_f32 v[162:163], v[4:5], v[162:163]                // 00000000B6DC: D3B140A2 18034504
	v_pk_mul_f32 v[104:105], v[4:5], v[104:105]                // 00000000B6E4: D3B14068 1802D104
	v_pk_mul_f32 v[168:169], v[4:5], v[168:169]                // 00000000B6EC: D3B140A8 18035104
	v_pk_mul_f32 v[106:107], v[4:5], v[106:107]                // 00000000B6F4: D3B1406A 1802D504
	v_pk_mul_f32 v[170:171], v[4:5], v[170:171]                // 00000000B6FC: D3B140AA 18035504
	v_pk_mul_f32 v[112:113], v[4:5], v[112:113]                // 00000000B704: D3B14070 1802E104
	v_pk_mul_f32 v[176:177], v[4:5], v[176:177]                // 00000000B70C: D3B140B0 18036104
	v_pk_mul_f32 v[114:115], v[4:5], v[114:115]                // 00000000B714: D3B14072 1802E504
	v_pk_mul_f32 v[178:179], v[4:5], v[178:179]                // 00000000B71C: D3B140B2 18036504
	s_cmp_eq_u32 s88, 0                                        // 00000000B724: BF068058
	s_cbranch_scc0 label_2AE7                                  // 00000000B728: BF840799
	s_cmp_eq_u32 s89, 0                                        // 00000000B72C: BF068059
	s_cbranch_scc1 label_25D5                                  // 00000000B730: BF850285
	v_mov_b32_e32 v8, v1                                       // 00000000B734: 7E100301
	v_mov_b32_e32 v9, v1                                       // 00000000B738: 7E120301
	s_mov_b32 s60, s6                                          // 00000000B73C: BEBC0006
	s_mov_b32 s61, s6                                          // 00000000B740: BEBD0006
	v_pk_mul_f32 v[4:5], v[52:53], v[52:53]                    // 00000000B744: D3B14004 18026934
	v_pk_mul_f32 v[6:7], v[54:55], v[54:55]                    // 00000000B74C: D3B14006 18026D36
	v_pk_fma_f32 v[4:5], v[4:5], s[78:79], v[8:9]              // 00000000B754: D3B04004 1C209D04
	v_pk_fma_f32 v[6:7], v[6:7], s[78:79], v[8:9]              // 00000000B75C: D3B04006 1C209D06
	v_pk_mul_f32 v[4:5], v[4:5], v[52:53]                      // 00000000B764: D3B14004 18026904
	v_pk_mul_f32 v[6:7], v[6:7], v[54:55]                      // 00000000B76C: D3B14006 18026D06
	v_pk_mul_f32 v[4:5], v[4:5], s[60:61]                      // 00000000B774: D3B14004 18007904
	v_pk_mul_f32 v[6:7], v[6:7], s[60:61]                      // 00000000B77C: D3B14006 18007906
	v_exp_f32_e32 v4, v4                                       // 00000000B784: 7E084104
	v_exp_f32_e32 v5, v5                                       // 00000000B788: 7E0A4105
	v_exp_f32_e32 v6, v6                                       // 00000000B78C: 7E0C4106
	v_exp_f32_e32 v7, v7                                       // 00000000B790: 7E0E4107
	v_add_f32_e64 v4, v4, 1.0                                  // 00000000B794: D1010004 0001E504
	v_add_f32_e64 v5, v5, 1.0                                  // 00000000B79C: D1010005 0001E505
	v_add_f32_e64 v6, v6, 1.0                                  // 00000000B7A4: D1010006 0001E506
	v_add_f32_e64 v7, v7, 1.0                                  // 00000000B7AC: D1010007 0001E507
	v_rcp_f32_e32 v4, v4                                       // 00000000B7B4: 7E084504
	v_rcp_f32_e32 v5, v5                                       // 00000000B7B8: 7E0A4505
	v_rcp_f32_e32 v6, v6                                       // 00000000B7BC: 7E0C4506
	v_rcp_f32_e32 v7, v7                                       // 00000000B7C0: 7E0E4507
	v_mul_f32_e32 v52, v52, v4                                 // 00000000B7C4: 0A680934
	v_mul_f32_e32 v53, v53, v5                                 // 00000000B7C8: 0A6A0B35
	v_mul_f32_e32 v54, v54, v6                                 // 00000000B7CC: 0A6C0D36
	v_mul_f32_e32 v55, v55, v7                                 // 00000000B7D0: 0A6E0F37
	v_mul_f32_e32 v52, v52, v116                               // 00000000B7D4: 0A68E934
	v_mul_f32_e32 v53, v53, v117                               // 00000000B7D8: 0A6AEB35
	v_mul_f32_e32 v54, v54, v118                               // 00000000B7DC: 0A6CED36
	v_mul_f32_e32 v55, v55, v119                               // 00000000B7E0: 0A6EEF37
	v_pk_mul_f32 v[4:5], v[56:57], v[56:57]                    // 00000000B7E4: D3B14004 18027138
	v_pk_mul_f32 v[6:7], v[58:59], v[58:59]                    // 00000000B7EC: D3B14006 1802753A
	v_pk_fma_f32 v[4:5], v[4:5], s[78:79], v[8:9]              // 00000000B7F4: D3B04004 1C209D04
	v_pk_fma_f32 v[6:7], v[6:7], s[78:79], v[8:9]              // 00000000B7FC: D3B04006 1C209D06
	v_pk_mul_f32 v[4:5], v[4:5], v[56:57]                      // 00000000B804: D3B14004 18027104
	v_pk_mul_f32 v[6:7], v[6:7], v[58:59]                      // 00000000B80C: D3B14006 18027506
	v_pk_mul_f32 v[4:5], v[4:5], s[60:61]                      // 00000000B814: D3B14004 18007904
	v_pk_mul_f32 v[6:7], v[6:7], s[60:61]                      // 00000000B81C: D3B14006 18007906
	v_exp_f32_e32 v4, v4                                       // 00000000B824: 7E084104
	v_exp_f32_e32 v5, v5                                       // 00000000B828: 7E0A4105
	v_exp_f32_e32 v6, v6                                       // 00000000B82C: 7E0C4106
	v_exp_f32_e32 v7, v7                                       // 00000000B830: 7E0E4107
	v_add_f32_e64 v4, v4, 1.0                                  // 00000000B834: D1010004 0001E504
	v_add_f32_e64 v5, v5, 1.0                                  // 00000000B83C: D1010005 0001E505
	v_add_f32_e64 v6, v6, 1.0                                  // 00000000B844: D1010006 0001E506
	v_add_f32_e64 v7, v7, 1.0                                  // 00000000B84C: D1010007 0001E507
	v_rcp_f32_e32 v4, v4                                       // 00000000B854: 7E084504
	v_rcp_f32_e32 v5, v5                                       // 00000000B858: 7E0A4505
	v_rcp_f32_e32 v6, v6                                       // 00000000B85C: 7E0C4506
	v_rcp_f32_e32 v7, v7                                       // 00000000B860: 7E0E4507
	v_mul_f32_e32 v56, v56, v4                                 // 00000000B864: 0A700938
	v_mul_f32_e32 v57, v57, v5                                 // 00000000B868: 0A720B39
	v_mul_f32_e32 v58, v58, v6                                 // 00000000B86C: 0A740D3A
	v_mul_f32_e32 v59, v59, v7                                 // 00000000B870: 0A760F3B
	v_mul_f32_e32 v56, v56, v120                               // 00000000B874: 0A70F138
	v_mul_f32_e32 v57, v57, v121                               // 00000000B878: 0A72F339
	v_mul_f32_e32 v58, v58, v122                               // 00000000B87C: 0A74F53A
	v_mul_f32_e32 v59, v59, v123                               // 00000000B880: 0A76F73B
	v_pk_mul_f32 v[4:5], v[60:61], v[60:61]                    // 00000000B884: D3B14004 1802793C
	v_pk_mul_f32 v[6:7], v[62:63], v[62:63]                    // 00000000B88C: D3B14006 18027D3E
	v_pk_fma_f32 v[4:5], v[4:5], s[78:79], v[8:9]              // 00000000B894: D3B04004 1C209D04
	v_pk_fma_f32 v[6:7], v[6:7], s[78:79], v[8:9]              // 00000000B89C: D3B04006 1C209D06
	v_pk_mul_f32 v[4:5], v[4:5], v[60:61]                      // 00000000B8A4: D3B14004 18027904
	v_pk_mul_f32 v[6:7], v[6:7], v[62:63]                      // 00000000B8AC: D3B14006 18027D06
	v_pk_mul_f32 v[4:5], v[4:5], s[60:61]                      // 00000000B8B4: D3B14004 18007904
	v_pk_mul_f32 v[6:7], v[6:7], s[60:61]                      // 00000000B8BC: D3B14006 18007906
	v_exp_f32_e32 v4, v4                                       // 00000000B8C4: 7E084104
	v_exp_f32_e32 v5, v5                                       // 00000000B8C8: 7E0A4105
	v_exp_f32_e32 v6, v6                                       // 00000000B8CC: 7E0C4106
	v_exp_f32_e32 v7, v7                                       // 00000000B8D0: 7E0E4107
	v_add_f32_e64 v4, v4, 1.0                                  // 00000000B8D4: D1010004 0001E504
	v_add_f32_e64 v5, v5, 1.0                                  // 00000000B8DC: D1010005 0001E505
	v_add_f32_e64 v6, v6, 1.0                                  // 00000000B8E4: D1010006 0001E506
	v_add_f32_e64 v7, v7, 1.0                                  // 00000000B8EC: D1010007 0001E507
	v_rcp_f32_e32 v4, v4                                       // 00000000B8F4: 7E084504
	v_rcp_f32_e32 v5, v5                                       // 00000000B8F8: 7E0A4505
	v_rcp_f32_e32 v6, v6                                       // 00000000B8FC: 7E0C4506
	v_rcp_f32_e32 v7, v7                                       // 00000000B900: 7E0E4507
	v_mul_f32_e32 v60, v60, v4                                 // 00000000B904: 0A78093C
	v_mul_f32_e32 v61, v61, v5                                 // 00000000B908: 0A7A0B3D
	v_mul_f32_e32 v62, v62, v6                                 // 00000000B90C: 0A7C0D3E
	v_mul_f32_e32 v63, v63, v7                                 // 00000000B910: 0A7E0F3F
	v_mul_f32_e32 v60, v60, v124                               // 00000000B914: 0A78F93C
	v_mul_f32_e32 v61, v61, v125                               // 00000000B918: 0A7AFB3D
	v_mul_f32_e32 v62, v62, v126                               // 00000000B91C: 0A7CFD3E
	v_mul_f32_e32 v63, v63, v127                               // 00000000B920: 0A7EFF3F
	v_pk_mul_f32 v[4:5], v[64:65], v[64:65]                    // 00000000B924: D3B14004 18028140
	v_pk_mul_f32 v[6:7], v[66:67], v[66:67]                    // 00000000B92C: D3B14006 18028542
	v_pk_fma_f32 v[4:5], v[4:5], s[78:79], v[8:9]              // 00000000B934: D3B04004 1C209D04
	v_pk_fma_f32 v[6:7], v[6:7], s[78:79], v[8:9]              // 00000000B93C: D3B04006 1C209D06
	v_pk_mul_f32 v[4:5], v[4:5], v[64:65]                      // 00000000B944: D3B14004 18028104
	v_pk_mul_f32 v[6:7], v[6:7], v[66:67]                      // 00000000B94C: D3B14006 18028506
	v_pk_mul_f32 v[4:5], v[4:5], s[60:61]                      // 00000000B954: D3B14004 18007904
	v_pk_mul_f32 v[6:7], v[6:7], s[60:61]                      // 00000000B95C: D3B14006 18007906
	v_exp_f32_e32 v4, v4                                       // 00000000B964: 7E084104
	v_exp_f32_e32 v5, v5                                       // 00000000B968: 7E0A4105
	v_exp_f32_e32 v6, v6                                       // 00000000B96C: 7E0C4106
	v_exp_f32_e32 v7, v7                                       // 00000000B970: 7E0E4107
	v_add_f32_e64 v4, v4, 1.0                                  // 00000000B974: D1010004 0001E504
	v_add_f32_e64 v5, v5, 1.0                                  // 00000000B97C: D1010005 0001E505
	v_add_f32_e64 v6, v6, 1.0                                  // 00000000B984: D1010006 0001E506
	v_add_f32_e64 v7, v7, 1.0                                  // 00000000B98C: D1010007 0001E507
	v_rcp_f32_e32 v4, v4                                       // 00000000B994: 7E084504
	v_rcp_f32_e32 v5, v5                                       // 00000000B998: 7E0A4505
	v_rcp_f32_e32 v6, v6                                       // 00000000B99C: 7E0C4506
	v_rcp_f32_e32 v7, v7                                       // 00000000B9A0: 7E0E4507
	v_mul_f32_e32 v64, v64, v4                                 // 00000000B9A4: 0A800940
	v_mul_f32_e32 v65, v65, v5                                 // 00000000B9A8: 0A820B41
	v_mul_f32_e32 v66, v66, v6                                 // 00000000B9AC: 0A840D42
	v_mul_f32_e32 v67, v67, v7                                 // 00000000B9B0: 0A860F43
	v_mul_f32_e32 v64, v64, v128                               // 00000000B9B4: 0A810140
	v_mul_f32_e32 v65, v65, v129                               // 00000000B9B8: 0A830341
	v_mul_f32_e32 v66, v66, v130                               // 00000000B9BC: 0A850542
	v_mul_f32_e32 v67, v67, v131                               // 00000000B9C0: 0A870743
	v_pk_mul_f32 v[4:5], v[68:69], v[68:69]                    // 00000000B9C4: D3B14004 18028944
	v_pk_mul_f32 v[6:7], v[70:71], v[70:71]                    // 00000000B9CC: D3B14006 18028D46
	v_pk_fma_f32 v[4:5], v[4:5], s[78:79], v[8:9]              // 00000000B9D4: D3B04004 1C209D04
	v_pk_fma_f32 v[6:7], v[6:7], s[78:79], v[8:9]              // 00000000B9DC: D3B04006 1C209D06
	v_pk_mul_f32 v[4:5], v[4:5], v[68:69]                      // 00000000B9E4: D3B14004 18028904
	v_pk_mul_f32 v[6:7], v[6:7], v[70:71]                      // 00000000B9EC: D3B14006 18028D06
	v_pk_mul_f32 v[4:5], v[4:5], s[60:61]                      // 00000000B9F4: D3B14004 18007904
	v_pk_mul_f32 v[6:7], v[6:7], s[60:61]                      // 00000000B9FC: D3B14006 18007906
	v_exp_f32_e32 v4, v4                                       // 00000000BA04: 7E084104
	v_exp_f32_e32 v5, v5                                       // 00000000BA08: 7E0A4105
	v_exp_f32_e32 v6, v6                                       // 00000000BA0C: 7E0C4106
	v_exp_f32_e32 v7, v7                                       // 00000000BA10: 7E0E4107
	v_add_f32_e64 v4, v4, 1.0                                  // 00000000BA14: D1010004 0001E504
	v_add_f32_e64 v5, v5, 1.0                                  // 00000000BA1C: D1010005 0001E505
	v_add_f32_e64 v6, v6, 1.0                                  // 00000000BA24: D1010006 0001E506
	v_add_f32_e64 v7, v7, 1.0                                  // 00000000BA2C: D1010007 0001E507
	v_rcp_f32_e32 v4, v4                                       // 00000000BA34: 7E084504
	v_rcp_f32_e32 v5, v5                                       // 00000000BA38: 7E0A4505
	v_rcp_f32_e32 v6, v6                                       // 00000000BA3C: 7E0C4506
	v_rcp_f32_e32 v7, v7                                       // 00000000BA40: 7E0E4507
	v_mul_f32_e32 v68, v68, v4                                 // 00000000BA44: 0A880944
	v_mul_f32_e32 v69, v69, v5                                 // 00000000BA48: 0A8A0B45
	v_mul_f32_e32 v70, v70, v6                                 // 00000000BA4C: 0A8C0D46
	v_mul_f32_e32 v71, v71, v7                                 // 00000000BA50: 0A8E0F47
	v_mul_f32_e32 v68, v68, v132                               // 00000000BA54: 0A890944
	v_mul_f32_e32 v69, v69, v133                               // 00000000BA58: 0A8B0B45
	v_mul_f32_e32 v70, v70, v134                               // 00000000BA5C: 0A8D0D46
	v_mul_f32_e32 v71, v71, v135                               // 00000000BA60: 0A8F0F47
	v_pk_mul_f32 v[4:5], v[72:73], v[72:73]                    // 00000000BA64: D3B14004 18029148
	v_pk_mul_f32 v[6:7], v[74:75], v[74:75]                    // 00000000BA6C: D3B14006 1802954A
	v_pk_fma_f32 v[4:5], v[4:5], s[78:79], v[8:9]              // 00000000BA74: D3B04004 1C209D04
	v_pk_fma_f32 v[6:7], v[6:7], s[78:79], v[8:9]              // 00000000BA7C: D3B04006 1C209D06
	v_pk_mul_f32 v[4:5], v[4:5], v[72:73]                      // 00000000BA84: D3B14004 18029104
	v_pk_mul_f32 v[6:7], v[6:7], v[74:75]                      // 00000000BA8C: D3B14006 18029506
	v_pk_mul_f32 v[4:5], v[4:5], s[60:61]                      // 00000000BA94: D3B14004 18007904
	v_pk_mul_f32 v[6:7], v[6:7], s[60:61]                      // 00000000BA9C: D3B14006 18007906
	v_exp_f32_e32 v4, v4                                       // 00000000BAA4: 7E084104
	v_exp_f32_e32 v5, v5                                       // 00000000BAA8: 7E0A4105
	v_exp_f32_e32 v6, v6                                       // 00000000BAAC: 7E0C4106
	v_exp_f32_e32 v7, v7                                       // 00000000BAB0: 7E0E4107
	v_add_f32_e64 v4, v4, 1.0                                  // 00000000BAB4: D1010004 0001E504
	v_add_f32_e64 v5, v5, 1.0                                  // 00000000BABC: D1010005 0001E505
	v_add_f32_e64 v6, v6, 1.0                                  // 00000000BAC4: D1010006 0001E506
	v_add_f32_e64 v7, v7, 1.0                                  // 00000000BACC: D1010007 0001E507
	v_rcp_f32_e32 v4, v4                                       // 00000000BAD4: 7E084504
	v_rcp_f32_e32 v5, v5                                       // 00000000BAD8: 7E0A4505
	v_rcp_f32_e32 v6, v6                                       // 00000000BADC: 7E0C4506
	v_rcp_f32_e32 v7, v7                                       // 00000000BAE0: 7E0E4507
	v_mul_f32_e32 v72, v72, v4                                 // 00000000BAE4: 0A900948
	v_mul_f32_e32 v73, v73, v5                                 // 00000000BAE8: 0A920B49
	v_mul_f32_e32 v74, v74, v6                                 // 00000000BAEC: 0A940D4A
	v_mul_f32_e32 v75, v75, v7                                 // 00000000BAF0: 0A960F4B
	v_mul_f32_e32 v72, v72, v136                               // 00000000BAF4: 0A911148
	v_mul_f32_e32 v73, v73, v137                               // 00000000BAF8: 0A931349
	v_mul_f32_e32 v74, v74, v138                               // 00000000BAFC: 0A95154A
	v_mul_f32_e32 v75, v75, v139                               // 00000000BB00: 0A97174B
	v_pk_mul_f32 v[4:5], v[76:77], v[76:77]                    // 00000000BB04: D3B14004 1802994C
	v_pk_mul_f32 v[6:7], v[78:79], v[78:79]                    // 00000000BB0C: D3B14006 18029D4E
	v_pk_fma_f32 v[4:5], v[4:5], s[78:79], v[8:9]              // 00000000BB14: D3B04004 1C209D04
	v_pk_fma_f32 v[6:7], v[6:7], s[78:79], v[8:9]              // 00000000BB1C: D3B04006 1C209D06
	v_pk_mul_f32 v[4:5], v[4:5], v[76:77]                      // 00000000BB24: D3B14004 18029904
	v_pk_mul_f32 v[6:7], v[6:7], v[78:79]                      // 00000000BB2C: D3B14006 18029D06
	v_pk_mul_f32 v[4:5], v[4:5], s[60:61]                      // 00000000BB34: D3B14004 18007904
	v_pk_mul_f32 v[6:7], v[6:7], s[60:61]                      // 00000000BB3C: D3B14006 18007906
	v_exp_f32_e32 v4, v4                                       // 00000000BB44: 7E084104
	v_exp_f32_e32 v5, v5                                       // 00000000BB48: 7E0A4105
	v_exp_f32_e32 v6, v6                                       // 00000000BB4C: 7E0C4106
	v_exp_f32_e32 v7, v7                                       // 00000000BB50: 7E0E4107
	v_add_f32_e64 v4, v4, 1.0                                  // 00000000BB54: D1010004 0001E504
	v_add_f32_e64 v5, v5, 1.0                                  // 00000000BB5C: D1010005 0001E505
	v_add_f32_e64 v6, v6, 1.0                                  // 00000000BB64: D1010006 0001E506
	v_add_f32_e64 v7, v7, 1.0                                  // 00000000BB6C: D1010007 0001E507
	v_rcp_f32_e32 v4, v4                                       // 00000000BB74: 7E084504
	v_rcp_f32_e32 v5, v5                                       // 00000000BB78: 7E0A4505
	v_rcp_f32_e32 v6, v6                                       // 00000000BB7C: 7E0C4506
	v_rcp_f32_e32 v7, v7                                       // 00000000BB80: 7E0E4507
	v_mul_f32_e32 v76, v76, v4                                 // 00000000BB84: 0A98094C
	v_mul_f32_e32 v77, v77, v5                                 // 00000000BB88: 0A9A0B4D
	v_mul_f32_e32 v78, v78, v6                                 // 00000000BB8C: 0A9C0D4E
	v_mul_f32_e32 v79, v79, v7                                 // 00000000BB90: 0A9E0F4F
	v_mul_f32_e32 v76, v76, v140                               // 00000000BB94: 0A99194C
	v_mul_f32_e32 v77, v77, v141                               // 00000000BB98: 0A9B1B4D
	v_mul_f32_e32 v78, v78, v142                               // 00000000BB9C: 0A9D1D4E
	v_mul_f32_e32 v79, v79, v143                               // 00000000BBA0: 0A9F1F4F
	v_pk_mul_f32 v[4:5], v[80:81], v[80:81]                    // 00000000BBA4: D3B14004 1802A150
	v_pk_mul_f32 v[6:7], v[82:83], v[82:83]                    // 00000000BBAC: D3B14006 1802A552
	v_pk_fma_f32 v[4:5], v[4:5], s[78:79], v[8:9]              // 00000000BBB4: D3B04004 1C209D04
	v_pk_fma_f32 v[6:7], v[6:7], s[78:79], v[8:9]              // 00000000BBBC: D3B04006 1C209D06
	v_pk_mul_f32 v[4:5], v[4:5], v[80:81]                      // 00000000BBC4: D3B14004 1802A104
	v_pk_mul_f32 v[6:7], v[6:7], v[82:83]                      // 00000000BBCC: D3B14006 1802A506
	v_pk_mul_f32 v[4:5], v[4:5], s[60:61]                      // 00000000BBD4: D3B14004 18007904
	v_pk_mul_f32 v[6:7], v[6:7], s[60:61]                      // 00000000BBDC: D3B14006 18007906
	v_exp_f32_e32 v4, v4                                       // 00000000BBE4: 7E084104
	v_exp_f32_e32 v5, v5                                       // 00000000BBE8: 7E0A4105
	v_exp_f32_e32 v6, v6                                       // 00000000BBEC: 7E0C4106
	v_exp_f32_e32 v7, v7                                       // 00000000BBF0: 7E0E4107
	v_add_f32_e64 v4, v4, 1.0                                  // 00000000BBF4: D1010004 0001E504
	v_add_f32_e64 v5, v5, 1.0                                  // 00000000BBFC: D1010005 0001E505
	v_add_f32_e64 v6, v6, 1.0                                  // 00000000BC04: D1010006 0001E506
	v_add_f32_e64 v7, v7, 1.0                                  // 00000000BC0C: D1010007 0001E507
	v_rcp_f32_e32 v4, v4                                       // 00000000BC14: 7E084504
	v_rcp_f32_e32 v5, v5                                       // 00000000BC18: 7E0A4505
	v_rcp_f32_e32 v6, v6                                       // 00000000BC1C: 7E0C4506
	v_rcp_f32_e32 v7, v7                                       // 00000000BC20: 7E0E4507
	v_mul_f32_e32 v80, v80, v4                                 // 00000000BC24: 0AA00950
	v_mul_f32_e32 v81, v81, v5                                 // 00000000BC28: 0AA20B51
	v_mul_f32_e32 v82, v82, v6                                 // 00000000BC2C: 0AA40D52
	v_mul_f32_e32 v83, v83, v7                                 // 00000000BC30: 0AA60F53
	v_mul_f32_e32 v80, v80, v144                               // 00000000BC34: 0AA12150
	v_mul_f32_e32 v81, v81, v145                               // 00000000BC38: 0AA32351
	v_mul_f32_e32 v82, v82, v146                               // 00000000BC3C: 0AA52552
	v_mul_f32_e32 v83, v83, v147                               // 00000000BC40: 0AA72753
	v_pk_mul_f32 v[4:5], v[84:85], v[84:85]                    // 00000000BC44: D3B14004 1802A954
	v_pk_mul_f32 v[6:7], v[86:87], v[86:87]                    // 00000000BC4C: D3B14006 1802AD56
	v_pk_fma_f32 v[4:5], v[4:5], s[78:79], v[8:9]              // 00000000BC54: D3B04004 1C209D04
	v_pk_fma_f32 v[6:7], v[6:7], s[78:79], v[8:9]              // 00000000BC5C: D3B04006 1C209D06
	v_pk_mul_f32 v[4:5], v[4:5], v[84:85]                      // 00000000BC64: D3B14004 1802A904
	v_pk_mul_f32 v[6:7], v[6:7], v[86:87]                      // 00000000BC6C: D3B14006 1802AD06
	v_pk_mul_f32 v[4:5], v[4:5], s[60:61]                      // 00000000BC74: D3B14004 18007904
	v_pk_mul_f32 v[6:7], v[6:7], s[60:61]                      // 00000000BC7C: D3B14006 18007906
	v_exp_f32_e32 v4, v4                                       // 00000000BC84: 7E084104
	v_exp_f32_e32 v5, v5                                       // 00000000BC88: 7E0A4105
	v_exp_f32_e32 v6, v6                                       // 00000000BC8C: 7E0C4106
	v_exp_f32_e32 v7, v7                                       // 00000000BC90: 7E0E4107
	v_add_f32_e64 v4, v4, 1.0                                  // 00000000BC94: D1010004 0001E504
	v_add_f32_e64 v5, v5, 1.0                                  // 00000000BC9C: D1010005 0001E505
	v_add_f32_e64 v6, v6, 1.0                                  // 00000000BCA4: D1010006 0001E506
	v_add_f32_e64 v7, v7, 1.0                                  // 00000000BCAC: D1010007 0001E507
	v_rcp_f32_e32 v4, v4                                       // 00000000BCB4: 7E084504
	v_rcp_f32_e32 v5, v5                                       // 00000000BCB8: 7E0A4505
	v_rcp_f32_e32 v6, v6                                       // 00000000BCBC: 7E0C4506
	v_rcp_f32_e32 v7, v7                                       // 00000000BCC0: 7E0E4507
	v_mul_f32_e32 v84, v84, v4                                 // 00000000BCC4: 0AA80954
	v_mul_f32_e32 v85, v85, v5                                 // 00000000BCC8: 0AAA0B55
	v_mul_f32_e32 v86, v86, v6                                 // 00000000BCCC: 0AAC0D56
	v_mul_f32_e32 v87, v87, v7                                 // 00000000BCD0: 0AAE0F57
	v_mul_f32_e32 v84, v84, v148                               // 00000000BCD4: 0AA92954
	v_mul_f32_e32 v85, v85, v149                               // 00000000BCD8: 0AAB2B55
	v_mul_f32_e32 v86, v86, v150                               // 00000000BCDC: 0AAD2D56
	v_mul_f32_e32 v87, v87, v151                               // 00000000BCE0: 0AAF2F57
	v_pk_mul_f32 v[4:5], v[88:89], v[88:89]                    // 00000000BCE4: D3B14004 1802B158
	v_pk_mul_f32 v[6:7], v[90:91], v[90:91]                    // 00000000BCEC: D3B14006 1802B55A
	v_pk_fma_f32 v[4:5], v[4:5], s[78:79], v[8:9]              // 00000000BCF4: D3B04004 1C209D04
	v_pk_fma_f32 v[6:7], v[6:7], s[78:79], v[8:9]              // 00000000BCFC: D3B04006 1C209D06
	v_pk_mul_f32 v[4:5], v[4:5], v[88:89]                      // 00000000BD04: D3B14004 1802B104
	v_pk_mul_f32 v[6:7], v[6:7], v[90:91]                      // 00000000BD0C: D3B14006 1802B506
	v_pk_mul_f32 v[4:5], v[4:5], s[60:61]                      // 00000000BD14: D3B14004 18007904
	v_pk_mul_f32 v[6:7], v[6:7], s[60:61]                      // 00000000BD1C: D3B14006 18007906
	v_exp_f32_e32 v4, v4                                       // 00000000BD24: 7E084104
	v_exp_f32_e32 v5, v5                                       // 00000000BD28: 7E0A4105
	v_exp_f32_e32 v6, v6                                       // 00000000BD2C: 7E0C4106
	v_exp_f32_e32 v7, v7                                       // 00000000BD30: 7E0E4107
	v_add_f32_e64 v4, v4, 1.0                                  // 00000000BD34: D1010004 0001E504
	v_add_f32_e64 v5, v5, 1.0                                  // 00000000BD3C: D1010005 0001E505
	v_add_f32_e64 v6, v6, 1.0                                  // 00000000BD44: D1010006 0001E506
	v_add_f32_e64 v7, v7, 1.0                                  // 00000000BD4C: D1010007 0001E507
	v_rcp_f32_e32 v4, v4                                       // 00000000BD54: 7E084504
	v_rcp_f32_e32 v5, v5                                       // 00000000BD58: 7E0A4505
	v_rcp_f32_e32 v6, v6                                       // 00000000BD5C: 7E0C4506
	v_rcp_f32_e32 v7, v7                                       // 00000000BD60: 7E0E4507
	v_mul_f32_e32 v88, v88, v4                                 // 00000000BD64: 0AB00958
	v_mul_f32_e32 v89, v89, v5                                 // 00000000BD68: 0AB20B59
	v_mul_f32_e32 v90, v90, v6                                 // 00000000BD6C: 0AB40D5A
	v_mul_f32_e32 v91, v91, v7                                 // 00000000BD70: 0AB60F5B
	v_mul_f32_e32 v88, v88, v152                               // 00000000BD74: 0AB13158
	v_mul_f32_e32 v89, v89, v153                               // 00000000BD78: 0AB33359
	v_mul_f32_e32 v90, v90, v154                               // 00000000BD7C: 0AB5355A
	v_mul_f32_e32 v91, v91, v155                               // 00000000BD80: 0AB7375B
	v_pk_mul_f32 v[4:5], v[92:93], v[92:93]                    // 00000000BD84: D3B14004 1802B95C
	v_pk_mul_f32 v[6:7], v[94:95], v[94:95]                    // 00000000BD8C: D3B14006 1802BD5E
	v_pk_fma_f32 v[4:5], v[4:5], s[78:79], v[8:9]              // 00000000BD94: D3B04004 1C209D04
	v_pk_fma_f32 v[6:7], v[6:7], s[78:79], v[8:9]              // 00000000BD9C: D3B04006 1C209D06
	v_pk_mul_f32 v[4:5], v[4:5], v[92:93]                      // 00000000BDA4: D3B14004 1802B904
	v_pk_mul_f32 v[6:7], v[6:7], v[94:95]                      // 00000000BDAC: D3B14006 1802BD06
	v_pk_mul_f32 v[4:5], v[4:5], s[60:61]                      // 00000000BDB4: D3B14004 18007904
	v_pk_mul_f32 v[6:7], v[6:7], s[60:61]                      // 00000000BDBC: D3B14006 18007906
	v_exp_f32_e32 v4, v4                                       // 00000000BDC4: 7E084104
	v_exp_f32_e32 v5, v5                                       // 00000000BDC8: 7E0A4105
	v_exp_f32_e32 v6, v6                                       // 00000000BDCC: 7E0C4106
	v_exp_f32_e32 v7, v7                                       // 00000000BDD0: 7E0E4107
	v_add_f32_e64 v4, v4, 1.0                                  // 00000000BDD4: D1010004 0001E504
	v_add_f32_e64 v5, v5, 1.0                                  // 00000000BDDC: D1010005 0001E505
	v_add_f32_e64 v6, v6, 1.0                                  // 00000000BDE4: D1010006 0001E506
	v_add_f32_e64 v7, v7, 1.0                                  // 00000000BDEC: D1010007 0001E507
	v_rcp_f32_e32 v4, v4                                       // 00000000BDF4: 7E084504
	v_rcp_f32_e32 v5, v5                                       // 00000000BDF8: 7E0A4505
	v_rcp_f32_e32 v6, v6                                       // 00000000BDFC: 7E0C4506
	v_rcp_f32_e32 v7, v7                                       // 00000000BE00: 7E0E4507
	v_mul_f32_e32 v92, v92, v4                                 // 00000000BE04: 0AB8095C
	v_mul_f32_e32 v93, v93, v5                                 // 00000000BE08: 0ABA0B5D
	v_mul_f32_e32 v94, v94, v6                                 // 00000000BE0C: 0ABC0D5E
	v_mul_f32_e32 v95, v95, v7                                 // 00000000BE10: 0ABE0F5F
	v_mul_f32_e32 v92, v92, v156                               // 00000000BE14: 0AB9395C
	v_mul_f32_e32 v93, v93, v157                               // 00000000BE18: 0ABB3B5D
	v_mul_f32_e32 v94, v94, v158                               // 00000000BE1C: 0ABD3D5E
	v_mul_f32_e32 v95, v95, v159                               // 00000000BE20: 0ABF3F5F
	v_pk_mul_f32 v[4:5], v[96:97], v[96:97]                    // 00000000BE24: D3B14004 1802C160
	v_pk_mul_f32 v[6:7], v[98:99], v[98:99]                    // 00000000BE2C: D3B14006 1802C562
	v_pk_fma_f32 v[4:5], v[4:5], s[78:79], v[8:9]              // 00000000BE34: D3B04004 1C209D04
	v_pk_fma_f32 v[6:7], v[6:7], s[78:79], v[8:9]              // 00000000BE3C: D3B04006 1C209D06
	v_pk_mul_f32 v[4:5], v[4:5], v[96:97]                      // 00000000BE44: D3B14004 1802C104
	v_pk_mul_f32 v[6:7], v[6:7], v[98:99]                      // 00000000BE4C: D3B14006 1802C506
	v_pk_mul_f32 v[4:5], v[4:5], s[60:61]                      // 00000000BE54: D3B14004 18007904
	v_pk_mul_f32 v[6:7], v[6:7], s[60:61]                      // 00000000BE5C: D3B14006 18007906
	v_exp_f32_e32 v4, v4                                       // 00000000BE64: 7E084104
	v_exp_f32_e32 v5, v5                                       // 00000000BE68: 7E0A4105
	v_exp_f32_e32 v6, v6                                       // 00000000BE6C: 7E0C4106
	v_exp_f32_e32 v7, v7                                       // 00000000BE70: 7E0E4107
	v_add_f32_e64 v4, v4, 1.0                                  // 00000000BE74: D1010004 0001E504
	v_add_f32_e64 v5, v5, 1.0                                  // 00000000BE7C: D1010005 0001E505
	v_add_f32_e64 v6, v6, 1.0                                  // 00000000BE84: D1010006 0001E506
	v_add_f32_e64 v7, v7, 1.0                                  // 00000000BE8C: D1010007 0001E507
	v_rcp_f32_e32 v4, v4                                       // 00000000BE94: 7E084504
	v_rcp_f32_e32 v5, v5                                       // 00000000BE98: 7E0A4505
	v_rcp_f32_e32 v6, v6                                       // 00000000BE9C: 7E0C4506
	v_rcp_f32_e32 v7, v7                                       // 00000000BEA0: 7E0E4507
	v_mul_f32_e32 v96, v96, v4                                 // 00000000BEA4: 0AC00960
	v_mul_f32_e32 v97, v97, v5                                 // 00000000BEA8: 0AC20B61
	v_mul_f32_e32 v98, v98, v6                                 // 00000000BEAC: 0AC40D62
	v_mul_f32_e32 v99, v99, v7                                 // 00000000BEB0: 0AC60F63
	v_mul_f32_e32 v96, v96, v160                               // 00000000BEB4: 0AC14160
	v_mul_f32_e32 v97, v97, v161                               // 00000000BEB8: 0AC34361
	v_mul_f32_e32 v98, v98, v162                               // 00000000BEBC: 0AC54562
	v_mul_f32_e32 v99, v99, v163                               // 00000000BEC0: 0AC74763
	v_pk_mul_f32 v[4:5], v[100:101], v[100:101]                // 00000000BEC4: D3B14004 1802C964
	v_pk_mul_f32 v[6:7], v[102:103], v[102:103]                // 00000000BECC: D3B14006 1802CD66
	v_pk_fma_f32 v[4:5], v[4:5], s[78:79], v[8:9]              // 00000000BED4: D3B04004 1C209D04
	v_pk_fma_f32 v[6:7], v[6:7], s[78:79], v[8:9]              // 00000000BEDC: D3B04006 1C209D06
	v_pk_mul_f32 v[4:5], v[4:5], v[100:101]                    // 00000000BEE4: D3B14004 1802C904
	v_pk_mul_f32 v[6:7], v[6:7], v[102:103]                    // 00000000BEEC: D3B14006 1802CD06
	v_pk_mul_f32 v[4:5], v[4:5], s[60:61]                      // 00000000BEF4: D3B14004 18007904
	v_pk_mul_f32 v[6:7], v[6:7], s[60:61]                      // 00000000BEFC: D3B14006 18007906
	v_exp_f32_e32 v4, v4                                       // 00000000BF04: 7E084104
	v_exp_f32_e32 v5, v5                                       // 00000000BF08: 7E0A4105
	v_exp_f32_e32 v6, v6                                       // 00000000BF0C: 7E0C4106
	v_exp_f32_e32 v7, v7                                       // 00000000BF10: 7E0E4107
	v_add_f32_e64 v4, v4, 1.0                                  // 00000000BF14: D1010004 0001E504
	v_add_f32_e64 v5, v5, 1.0                                  // 00000000BF1C: D1010005 0001E505
	v_add_f32_e64 v6, v6, 1.0                                  // 00000000BF24: D1010006 0001E506
	v_add_f32_e64 v7, v7, 1.0                                  // 00000000BF2C: D1010007 0001E507
	v_rcp_f32_e32 v4, v4                                       // 00000000BF34: 7E084504
	v_rcp_f32_e32 v5, v5                                       // 00000000BF38: 7E0A4505
	v_rcp_f32_e32 v6, v6                                       // 00000000BF3C: 7E0C4506
	v_rcp_f32_e32 v7, v7                                       // 00000000BF40: 7E0E4507
	v_mul_f32_e32 v100, v100, v4                               // 00000000BF44: 0AC80964
	v_mul_f32_e32 v101, v101, v5                               // 00000000BF48: 0ACA0B65
	v_mul_f32_e32 v102, v102, v6                               // 00000000BF4C: 0ACC0D66
	v_mul_f32_e32 v103, v103, v7                               // 00000000BF50: 0ACE0F67
	v_mul_f32_e32 v100, v100, v164                             // 00000000BF54: 0AC94964
	v_mul_f32_e32 v101, v101, v165                             // 00000000BF58: 0ACB4B65
	v_mul_f32_e32 v102, v102, v166                             // 00000000BF5C: 0ACD4D66
	v_mul_f32_e32 v103, v103, v167                             // 00000000BF60: 0ACF4F67
	v_pk_mul_f32 v[4:5], v[104:105], v[104:105]                // 00000000BF64: D3B14004 1802D168
	v_pk_mul_f32 v[6:7], v[106:107], v[106:107]                // 00000000BF6C: D3B14006 1802D56A
	v_pk_fma_f32 v[4:5], v[4:5], s[78:79], v[8:9]              // 00000000BF74: D3B04004 1C209D04
	v_pk_fma_f32 v[6:7], v[6:7], s[78:79], v[8:9]              // 00000000BF7C: D3B04006 1C209D06
	v_pk_mul_f32 v[4:5], v[4:5], v[104:105]                    // 00000000BF84: D3B14004 1802D104
	v_pk_mul_f32 v[6:7], v[6:7], v[106:107]                    // 00000000BF8C: D3B14006 1802D506
	v_pk_mul_f32 v[4:5], v[4:5], s[60:61]                      // 00000000BF94: D3B14004 18007904
	v_pk_mul_f32 v[6:7], v[6:7], s[60:61]                      // 00000000BF9C: D3B14006 18007906
	v_exp_f32_e32 v4, v4                                       // 00000000BFA4: 7E084104
	v_exp_f32_e32 v5, v5                                       // 00000000BFA8: 7E0A4105
	v_exp_f32_e32 v6, v6                                       // 00000000BFAC: 7E0C4106
	v_exp_f32_e32 v7, v7                                       // 00000000BFB0: 7E0E4107
	v_add_f32_e64 v4, v4, 1.0                                  // 00000000BFB4: D1010004 0001E504
	v_add_f32_e64 v5, v5, 1.0                                  // 00000000BFBC: D1010005 0001E505
	v_add_f32_e64 v6, v6, 1.0                                  // 00000000BFC4: D1010006 0001E506
	v_add_f32_e64 v7, v7, 1.0                                  // 00000000BFCC: D1010007 0001E507
	v_rcp_f32_e32 v4, v4                                       // 00000000BFD4: 7E084504
	v_rcp_f32_e32 v5, v5                                       // 00000000BFD8: 7E0A4505
	v_rcp_f32_e32 v6, v6                                       // 00000000BFDC: 7E0C4506
	v_rcp_f32_e32 v7, v7                                       // 00000000BFE0: 7E0E4507
	v_mul_f32_e32 v104, v104, v4                               // 00000000BFE4: 0AD00968
	v_mul_f32_e32 v105, v105, v5                               // 00000000BFE8: 0AD20B69
	v_mul_f32_e32 v106, v106, v6                               // 00000000BFEC: 0AD40D6A
	v_mul_f32_e32 v107, v107, v7                               // 00000000BFF0: 0AD60F6B
	v_mul_f32_e32 v104, v104, v168                             // 00000000BFF4: 0AD15168
	v_mul_f32_e32 v105, v105, v169                             // 00000000BFF8: 0AD35369
	v_mul_f32_e32 v106, v106, v170                             // 00000000BFFC: 0AD5556A
	v_mul_f32_e32 v107, v107, v171                             // 00000000C000: 0AD7576B
	v_pk_mul_f32 v[4:5], v[108:109], v[108:109]                // 00000000C004: D3B14004 1802D96C
	v_pk_mul_f32 v[6:7], v[110:111], v[110:111]                // 00000000C00C: D3B14006 1802DD6E
	v_pk_fma_f32 v[4:5], v[4:5], s[78:79], v[8:9]              // 00000000C014: D3B04004 1C209D04
	v_pk_fma_f32 v[6:7], v[6:7], s[78:79], v[8:9]              // 00000000C01C: D3B04006 1C209D06
	v_pk_mul_f32 v[4:5], v[4:5], v[108:109]                    // 00000000C024: D3B14004 1802D904
	v_pk_mul_f32 v[6:7], v[6:7], v[110:111]                    // 00000000C02C: D3B14006 1802DD06
	v_pk_mul_f32 v[4:5], v[4:5], s[60:61]                      // 00000000C034: D3B14004 18007904
	v_pk_mul_f32 v[6:7], v[6:7], s[60:61]                      // 00000000C03C: D3B14006 18007906
	v_exp_f32_e32 v4, v4                                       // 00000000C044: 7E084104
	v_exp_f32_e32 v5, v5                                       // 00000000C048: 7E0A4105
	v_exp_f32_e32 v6, v6                                       // 00000000C04C: 7E0C4106
	v_exp_f32_e32 v7, v7                                       // 00000000C050: 7E0E4107
	v_add_f32_e64 v4, v4, 1.0                                  // 00000000C054: D1010004 0001E504
	v_add_f32_e64 v5, v5, 1.0                                  // 00000000C05C: D1010005 0001E505
	v_add_f32_e64 v6, v6, 1.0                                  // 00000000C064: D1010006 0001E506
	v_add_f32_e64 v7, v7, 1.0                                  // 00000000C06C: D1010007 0001E507
	v_rcp_f32_e32 v4, v4                                       // 00000000C074: 7E084504
	v_rcp_f32_e32 v5, v5                                       // 00000000C078: 7E0A4505
	v_rcp_f32_e32 v6, v6                                       // 00000000C07C: 7E0C4506
	v_rcp_f32_e32 v7, v7                                       // 00000000C080: 7E0E4507
	v_mul_f32_e32 v108, v108, v4                               // 00000000C084: 0AD8096C
	v_mul_f32_e32 v109, v109, v5                               // 00000000C088: 0ADA0B6D
	v_mul_f32_e32 v110, v110, v6                               // 00000000C08C: 0ADC0D6E
	v_mul_f32_e32 v111, v111, v7                               // 00000000C090: 0ADE0F6F
	v_mul_f32_e32 v108, v108, v172                             // 00000000C094: 0AD9596C
	v_mul_f32_e32 v109, v109, v173                             // 00000000C098: 0ADB5B6D
	v_mul_f32_e32 v110, v110, v174                             // 00000000C09C: 0ADD5D6E
	v_mul_f32_e32 v111, v111, v175                             // 00000000C0A0: 0ADF5F6F
	v_pk_mul_f32 v[4:5], v[112:113], v[112:113]                // 00000000C0A4: D3B14004 1802E170
	v_pk_mul_f32 v[6:7], v[114:115], v[114:115]                // 00000000C0AC: D3B14006 1802E572
	v_pk_fma_f32 v[4:5], v[4:5], s[78:79], v[8:9]              // 00000000C0B4: D3B04004 1C209D04
	v_pk_fma_f32 v[6:7], v[6:7], s[78:79], v[8:9]              // 00000000C0BC: D3B04006 1C209D06
	v_pk_mul_f32 v[4:5], v[4:5], v[112:113]                    // 00000000C0C4: D3B14004 1802E104
	v_pk_mul_f32 v[6:7], v[6:7], v[114:115]                    // 00000000C0CC: D3B14006 1802E506
	v_pk_mul_f32 v[4:5], v[4:5], s[60:61]                      // 00000000C0D4: D3B14004 18007904
	v_pk_mul_f32 v[6:7], v[6:7], s[60:61]                      // 00000000C0DC: D3B14006 18007906
	v_exp_f32_e32 v4, v4                                       // 00000000C0E4: 7E084104
	v_exp_f32_e32 v5, v5                                       // 00000000C0E8: 7E0A4105
	v_exp_f32_e32 v6, v6                                       // 00000000C0EC: 7E0C4106
	v_exp_f32_e32 v7, v7                                       // 00000000C0F0: 7E0E4107
	v_add_f32_e64 v4, v4, 1.0                                  // 00000000C0F4: D1010004 0001E504
	v_add_f32_e64 v5, v5, 1.0                                  // 00000000C0FC: D1010005 0001E505
	v_add_f32_e64 v6, v6, 1.0                                  // 00000000C104: D1010006 0001E506
	v_add_f32_e64 v7, v7, 1.0                                  // 00000000C10C: D1010007 0001E507
	v_rcp_f32_e32 v4, v4                                       // 00000000C114: 7E084504
	v_rcp_f32_e32 v5, v5                                       // 00000000C118: 7E0A4505
	v_rcp_f32_e32 v6, v6                                       // 00000000C11C: 7E0C4506
	v_rcp_f32_e32 v7, v7                                       // 00000000C120: 7E0E4507
	v_mul_f32_e32 v112, v112, v4                               // 00000000C124: 0AE00970
	v_mul_f32_e32 v113, v113, v5                               // 00000000C128: 0AE20B71
	v_mul_f32_e32 v114, v114, v6                               // 00000000C12C: 0AE40D72
	v_mul_f32_e32 v115, v115, v7                               // 00000000C130: 0AE60F73
	v_mul_f32_e32 v112, v112, v176                             // 00000000C134: 0AE16170
	v_mul_f32_e32 v113, v113, v177                             // 00000000C138: 0AE36371
	v_mul_f32_e32 v114, v114, v178                             // 00000000C13C: 0AE56572
	v_mul_f32_e32 v115, v115, v179                             // 00000000C140: 0AE76773
	s_branch label_27D5                                        // 00000000C144: BF820200

000000000000c148 <label_25D5>:
	v_mul_f32_e64 v4, -v52, s6                                 // 00000000C148: D1050004 20000D34
	v_mul_f32_e64 v5, -v53, s6                                 // 00000000C150: D1050005 20000D35
	v_mul_f32_e64 v6, -v54, s6                                 // 00000000C158: D1050006 20000D36
	v_mul_f32_e64 v7, -v55, s6                                 // 00000000C160: D1050007 20000D37
	v_exp_f32_e32 v4, v4                                       // 00000000C168: 7E084104
	v_exp_f32_e32 v5, v5                                       // 00000000C16C: 7E0A4105
	v_exp_f32_e32 v6, v6                                       // 00000000C170: 7E0C4106
	v_exp_f32_e32 v7, v7                                       // 00000000C174: 7E0E4107
	v_add_f32_e64 v4, v4, 1.0                                  // 00000000C178: D1010004 0001E504
	v_add_f32_e64 v5, v5, 1.0                                  // 00000000C180: D1010005 0001E505
	v_add_f32_e64 v6, v6, 1.0                                  // 00000000C188: D1010006 0001E506
	v_add_f32_e64 v7, v7, 1.0                                  // 00000000C190: D1010007 0001E507
	v_rcp_f32_e32 v4, v4                                       // 00000000C198: 7E084504
	v_rcp_f32_e32 v5, v5                                       // 00000000C19C: 7E0A4505
	v_rcp_f32_e32 v6, v6                                       // 00000000C1A0: 7E0C4506
	v_rcp_f32_e32 v7, v7                                       // 00000000C1A4: 7E0E4507
	v_mul_f32_e32 v52, v52, v4                                 // 00000000C1A8: 0A680934
	v_mul_f32_e32 v53, v53, v5                                 // 00000000C1AC: 0A6A0B35
	v_mul_f32_e32 v54, v54, v6                                 // 00000000C1B0: 0A6C0D36
	v_mul_f32_e32 v55, v55, v7                                 // 00000000C1B4: 0A6E0F37
	v_mul_f32_e32 v52, v52, v116                               // 00000000C1B8: 0A68E934
	v_mul_f32_e32 v53, v53, v117                               // 00000000C1BC: 0A6AEB35
	v_mul_f32_e32 v54, v54, v118                               // 00000000C1C0: 0A6CED36
	v_mul_f32_e32 v55, v55, v119                               // 00000000C1C4: 0A6EEF37
	v_mul_f32_e64 v4, -v56, s6                                 // 00000000C1C8: D1050004 20000D38
	v_mul_f32_e64 v5, -v57, s6                                 // 00000000C1D0: D1050005 20000D39
	v_mul_f32_e64 v6, -v58, s6                                 // 00000000C1D8: D1050006 20000D3A
	v_mul_f32_e64 v7, -v59, s6                                 // 00000000C1E0: D1050007 20000D3B
	v_exp_f32_e32 v4, v4                                       // 00000000C1E8: 7E084104
	v_exp_f32_e32 v5, v5                                       // 00000000C1EC: 7E0A4105
	v_exp_f32_e32 v6, v6                                       // 00000000C1F0: 7E0C4106
	v_exp_f32_e32 v7, v7                                       // 00000000C1F4: 7E0E4107
	v_add_f32_e64 v4, v4, 1.0                                  // 00000000C1F8: D1010004 0001E504
	v_add_f32_e64 v5, v5, 1.0                                  // 00000000C200: D1010005 0001E505
	v_add_f32_e64 v6, v6, 1.0                                  // 00000000C208: D1010006 0001E506
	v_add_f32_e64 v7, v7, 1.0                                  // 00000000C210: D1010007 0001E507
	v_rcp_f32_e32 v4, v4                                       // 00000000C218: 7E084504
	v_rcp_f32_e32 v5, v5                                       // 00000000C21C: 7E0A4505
	v_rcp_f32_e32 v6, v6                                       // 00000000C220: 7E0C4506
	v_rcp_f32_e32 v7, v7                                       // 00000000C224: 7E0E4507
	v_mul_f32_e32 v56, v56, v4                                 // 00000000C228: 0A700938
	v_mul_f32_e32 v57, v57, v5                                 // 00000000C22C: 0A720B39
	v_mul_f32_e32 v58, v58, v6                                 // 00000000C230: 0A740D3A
	v_mul_f32_e32 v59, v59, v7                                 // 00000000C234: 0A760F3B
	v_mul_f32_e32 v56, v56, v120                               // 00000000C238: 0A70F138
	v_mul_f32_e32 v57, v57, v121                               // 00000000C23C: 0A72F339
	v_mul_f32_e32 v58, v58, v122                               // 00000000C240: 0A74F53A
	v_mul_f32_e32 v59, v59, v123                               // 00000000C244: 0A76F73B
	v_mul_f32_e64 v4, -v60, s6                                 // 00000000C248: D1050004 20000D3C
	v_mul_f32_e64 v5, -v61, s6                                 // 00000000C250: D1050005 20000D3D
	v_mul_f32_e64 v6, -v62, s6                                 // 00000000C258: D1050006 20000D3E
	v_mul_f32_e64 v7, -v63, s6                                 // 00000000C260: D1050007 20000D3F
	v_exp_f32_e32 v4, v4                                       // 00000000C268: 7E084104
	v_exp_f32_e32 v5, v5                                       // 00000000C26C: 7E0A4105
	v_exp_f32_e32 v6, v6                                       // 00000000C270: 7E0C4106
	v_exp_f32_e32 v7, v7                                       // 00000000C274: 7E0E4107
	v_add_f32_e64 v4, v4, 1.0                                  // 00000000C278: D1010004 0001E504
	v_add_f32_e64 v5, v5, 1.0                                  // 00000000C280: D1010005 0001E505
	v_add_f32_e64 v6, v6, 1.0                                  // 00000000C288: D1010006 0001E506
	v_add_f32_e64 v7, v7, 1.0                                  // 00000000C290: D1010007 0001E507
	v_rcp_f32_e32 v4, v4                                       // 00000000C298: 7E084504
	v_rcp_f32_e32 v5, v5                                       // 00000000C29C: 7E0A4505
	v_rcp_f32_e32 v6, v6                                       // 00000000C2A0: 7E0C4506
	v_rcp_f32_e32 v7, v7                                       // 00000000C2A4: 7E0E4507
	v_mul_f32_e32 v60, v60, v4                                 // 00000000C2A8: 0A78093C
	v_mul_f32_e32 v61, v61, v5                                 // 00000000C2AC: 0A7A0B3D
	v_mul_f32_e32 v62, v62, v6                                 // 00000000C2B0: 0A7C0D3E
	v_mul_f32_e32 v63, v63, v7                                 // 00000000C2B4: 0A7E0F3F
	v_mul_f32_e32 v60, v60, v124                               // 00000000C2B8: 0A78F93C
	v_mul_f32_e32 v61, v61, v125                               // 00000000C2BC: 0A7AFB3D
	v_mul_f32_e32 v62, v62, v126                               // 00000000C2C0: 0A7CFD3E
	v_mul_f32_e32 v63, v63, v127                               // 00000000C2C4: 0A7EFF3F
	v_mul_f32_e64 v4, -v64, s6                                 // 00000000C2C8: D1050004 20000D40
	v_mul_f32_e64 v5, -v65, s6                                 // 00000000C2D0: D1050005 20000D41
	v_mul_f32_e64 v6, -v66, s6                                 // 00000000C2D8: D1050006 20000D42
	v_mul_f32_e64 v7, -v67, s6                                 // 00000000C2E0: D1050007 20000D43
	v_exp_f32_e32 v4, v4                                       // 00000000C2E8: 7E084104
	v_exp_f32_e32 v5, v5                                       // 00000000C2EC: 7E0A4105
	v_exp_f32_e32 v6, v6                                       // 00000000C2F0: 7E0C4106
	v_exp_f32_e32 v7, v7                                       // 00000000C2F4: 7E0E4107
	v_add_f32_e64 v4, v4, 1.0                                  // 00000000C2F8: D1010004 0001E504
	v_add_f32_e64 v5, v5, 1.0                                  // 00000000C300: D1010005 0001E505
	v_add_f32_e64 v6, v6, 1.0                                  // 00000000C308: D1010006 0001E506
	v_add_f32_e64 v7, v7, 1.0                                  // 00000000C310: D1010007 0001E507
	v_rcp_f32_e32 v4, v4                                       // 00000000C318: 7E084504
	v_rcp_f32_e32 v5, v5                                       // 00000000C31C: 7E0A4505
	v_rcp_f32_e32 v6, v6                                       // 00000000C320: 7E0C4506
	v_rcp_f32_e32 v7, v7                                       // 00000000C324: 7E0E4507
	v_mul_f32_e32 v64, v64, v4                                 // 00000000C328: 0A800940
	v_mul_f32_e32 v65, v65, v5                                 // 00000000C32C: 0A820B41
	v_mul_f32_e32 v66, v66, v6                                 // 00000000C330: 0A840D42
	v_mul_f32_e32 v67, v67, v7                                 // 00000000C334: 0A860F43
	v_mul_f32_e32 v64, v64, v128                               // 00000000C338: 0A810140
	v_mul_f32_e32 v65, v65, v129                               // 00000000C33C: 0A830341
	v_mul_f32_e32 v66, v66, v130                               // 00000000C340: 0A850542
	v_mul_f32_e32 v67, v67, v131                               // 00000000C344: 0A870743
	v_mul_f32_e64 v4, -v68, s6                                 // 00000000C348: D1050004 20000D44
	v_mul_f32_e64 v5, -v69, s6                                 // 00000000C350: D1050005 20000D45
	v_mul_f32_e64 v6, -v70, s6                                 // 00000000C358: D1050006 20000D46
	v_mul_f32_e64 v7, -v71, s6                                 // 00000000C360: D1050007 20000D47
	v_exp_f32_e32 v4, v4                                       // 00000000C368: 7E084104
	v_exp_f32_e32 v5, v5                                       // 00000000C36C: 7E0A4105
	v_exp_f32_e32 v6, v6                                       // 00000000C370: 7E0C4106
	v_exp_f32_e32 v7, v7                                       // 00000000C374: 7E0E4107
	v_add_f32_e64 v4, v4, 1.0                                  // 00000000C378: D1010004 0001E504
	v_add_f32_e64 v5, v5, 1.0                                  // 00000000C380: D1010005 0001E505
	v_add_f32_e64 v6, v6, 1.0                                  // 00000000C388: D1010006 0001E506
	v_add_f32_e64 v7, v7, 1.0                                  // 00000000C390: D1010007 0001E507
	v_rcp_f32_e32 v4, v4                                       // 00000000C398: 7E084504
	v_rcp_f32_e32 v5, v5                                       // 00000000C39C: 7E0A4505
	v_rcp_f32_e32 v6, v6                                       // 00000000C3A0: 7E0C4506
	v_rcp_f32_e32 v7, v7                                       // 00000000C3A4: 7E0E4507
	v_mul_f32_e32 v68, v68, v4                                 // 00000000C3A8: 0A880944
	v_mul_f32_e32 v69, v69, v5                                 // 00000000C3AC: 0A8A0B45
	v_mul_f32_e32 v70, v70, v6                                 // 00000000C3B0: 0A8C0D46
	v_mul_f32_e32 v71, v71, v7                                 // 00000000C3B4: 0A8E0F47
	v_mul_f32_e32 v68, v68, v132                               // 00000000C3B8: 0A890944
	v_mul_f32_e32 v69, v69, v133                               // 00000000C3BC: 0A8B0B45
	v_mul_f32_e32 v70, v70, v134                               // 00000000C3C0: 0A8D0D46
	v_mul_f32_e32 v71, v71, v135                               // 00000000C3C4: 0A8F0F47
	v_mul_f32_e64 v4, -v72, s6                                 // 00000000C3C8: D1050004 20000D48
	v_mul_f32_e64 v5, -v73, s6                                 // 00000000C3D0: D1050005 20000D49
	v_mul_f32_e64 v6, -v74, s6                                 // 00000000C3D8: D1050006 20000D4A
	v_mul_f32_e64 v7, -v75, s6                                 // 00000000C3E0: D1050007 20000D4B
	v_exp_f32_e32 v4, v4                                       // 00000000C3E8: 7E084104
	v_exp_f32_e32 v5, v5                                       // 00000000C3EC: 7E0A4105
	v_exp_f32_e32 v6, v6                                       // 00000000C3F0: 7E0C4106
	v_exp_f32_e32 v7, v7                                       // 00000000C3F4: 7E0E4107
	v_add_f32_e64 v4, v4, 1.0                                  // 00000000C3F8: D1010004 0001E504
	v_add_f32_e64 v5, v5, 1.0                                  // 00000000C400: D1010005 0001E505
	v_add_f32_e64 v6, v6, 1.0                                  // 00000000C408: D1010006 0001E506
	v_add_f32_e64 v7, v7, 1.0                                  // 00000000C410: D1010007 0001E507
	v_rcp_f32_e32 v4, v4                                       // 00000000C418: 7E084504
	v_rcp_f32_e32 v5, v5                                       // 00000000C41C: 7E0A4505
	v_rcp_f32_e32 v6, v6                                       // 00000000C420: 7E0C4506
	v_rcp_f32_e32 v7, v7                                       // 00000000C424: 7E0E4507
	v_mul_f32_e32 v72, v72, v4                                 // 00000000C428: 0A900948
	v_mul_f32_e32 v73, v73, v5                                 // 00000000C42C: 0A920B49
	v_mul_f32_e32 v74, v74, v6                                 // 00000000C430: 0A940D4A
	v_mul_f32_e32 v75, v75, v7                                 // 00000000C434: 0A960F4B
	v_mul_f32_e32 v72, v72, v136                               // 00000000C438: 0A911148
	v_mul_f32_e32 v73, v73, v137                               // 00000000C43C: 0A931349
	v_mul_f32_e32 v74, v74, v138                               // 00000000C440: 0A95154A
	v_mul_f32_e32 v75, v75, v139                               // 00000000C444: 0A97174B
	v_mul_f32_e64 v4, -v76, s6                                 // 00000000C448: D1050004 20000D4C
	v_mul_f32_e64 v5, -v77, s6                                 // 00000000C450: D1050005 20000D4D
	v_mul_f32_e64 v6, -v78, s6                                 // 00000000C458: D1050006 20000D4E
	v_mul_f32_e64 v7, -v79, s6                                 // 00000000C460: D1050007 20000D4F
	v_exp_f32_e32 v4, v4                                       // 00000000C468: 7E084104
	v_exp_f32_e32 v5, v5                                       // 00000000C46C: 7E0A4105
	v_exp_f32_e32 v6, v6                                       // 00000000C470: 7E0C4106
	v_exp_f32_e32 v7, v7                                       // 00000000C474: 7E0E4107
	v_add_f32_e64 v4, v4, 1.0                                  // 00000000C478: D1010004 0001E504
	v_add_f32_e64 v5, v5, 1.0                                  // 00000000C480: D1010005 0001E505
	v_add_f32_e64 v6, v6, 1.0                                  // 00000000C488: D1010006 0001E506
	v_add_f32_e64 v7, v7, 1.0                                  // 00000000C490: D1010007 0001E507
	v_rcp_f32_e32 v4, v4                                       // 00000000C498: 7E084504
	v_rcp_f32_e32 v5, v5                                       // 00000000C49C: 7E0A4505
	v_rcp_f32_e32 v6, v6                                       // 00000000C4A0: 7E0C4506
	v_rcp_f32_e32 v7, v7                                       // 00000000C4A4: 7E0E4507
	v_mul_f32_e32 v76, v76, v4                                 // 00000000C4A8: 0A98094C
	v_mul_f32_e32 v77, v77, v5                                 // 00000000C4AC: 0A9A0B4D
	v_mul_f32_e32 v78, v78, v6                                 // 00000000C4B0: 0A9C0D4E
	v_mul_f32_e32 v79, v79, v7                                 // 00000000C4B4: 0A9E0F4F
	v_mul_f32_e32 v76, v76, v140                               // 00000000C4B8: 0A99194C
	v_mul_f32_e32 v77, v77, v141                               // 00000000C4BC: 0A9B1B4D
	v_mul_f32_e32 v78, v78, v142                               // 00000000C4C0: 0A9D1D4E
	v_mul_f32_e32 v79, v79, v143                               // 00000000C4C4: 0A9F1F4F
	v_mul_f32_e64 v4, -v80, s6                                 // 00000000C4C8: D1050004 20000D50
	v_mul_f32_e64 v5, -v81, s6                                 // 00000000C4D0: D1050005 20000D51
	v_mul_f32_e64 v6, -v82, s6                                 // 00000000C4D8: D1050006 20000D52
	v_mul_f32_e64 v7, -v83, s6                                 // 00000000C4E0: D1050007 20000D53
	v_exp_f32_e32 v4, v4                                       // 00000000C4E8: 7E084104
	v_exp_f32_e32 v5, v5                                       // 00000000C4EC: 7E0A4105
	v_exp_f32_e32 v6, v6                                       // 00000000C4F0: 7E0C4106
	v_exp_f32_e32 v7, v7                                       // 00000000C4F4: 7E0E4107
	v_add_f32_e64 v4, v4, 1.0                                  // 00000000C4F8: D1010004 0001E504
	v_add_f32_e64 v5, v5, 1.0                                  // 00000000C500: D1010005 0001E505
	v_add_f32_e64 v6, v6, 1.0                                  // 00000000C508: D1010006 0001E506
	v_add_f32_e64 v7, v7, 1.0                                  // 00000000C510: D1010007 0001E507
	v_rcp_f32_e32 v4, v4                                       // 00000000C518: 7E084504
	v_rcp_f32_e32 v5, v5                                       // 00000000C51C: 7E0A4505
	v_rcp_f32_e32 v6, v6                                       // 00000000C520: 7E0C4506
	v_rcp_f32_e32 v7, v7                                       // 00000000C524: 7E0E4507
	v_mul_f32_e32 v80, v80, v4                                 // 00000000C528: 0AA00950
	v_mul_f32_e32 v81, v81, v5                                 // 00000000C52C: 0AA20B51
	v_mul_f32_e32 v82, v82, v6                                 // 00000000C530: 0AA40D52
	v_mul_f32_e32 v83, v83, v7                                 // 00000000C534: 0AA60F53
	v_mul_f32_e32 v80, v80, v144                               // 00000000C538: 0AA12150
	v_mul_f32_e32 v81, v81, v145                               // 00000000C53C: 0AA32351
	v_mul_f32_e32 v82, v82, v146                               // 00000000C540: 0AA52552
	v_mul_f32_e32 v83, v83, v147                               // 00000000C544: 0AA72753
	v_mul_f32_e64 v4, -v84, s6                                 // 00000000C548: D1050004 20000D54
	v_mul_f32_e64 v5, -v85, s6                                 // 00000000C550: D1050005 20000D55
	v_mul_f32_e64 v6, -v86, s6                                 // 00000000C558: D1050006 20000D56
	v_mul_f32_e64 v7, -v87, s6                                 // 00000000C560: D1050007 20000D57
	v_exp_f32_e32 v4, v4                                       // 00000000C568: 7E084104
	v_exp_f32_e32 v5, v5                                       // 00000000C56C: 7E0A4105
	v_exp_f32_e32 v6, v6                                       // 00000000C570: 7E0C4106
	v_exp_f32_e32 v7, v7                                       // 00000000C574: 7E0E4107
	v_add_f32_e64 v4, v4, 1.0                                  // 00000000C578: D1010004 0001E504
	v_add_f32_e64 v5, v5, 1.0                                  // 00000000C580: D1010005 0001E505
	v_add_f32_e64 v6, v6, 1.0                                  // 00000000C588: D1010006 0001E506
	v_add_f32_e64 v7, v7, 1.0                                  // 00000000C590: D1010007 0001E507
	v_rcp_f32_e32 v4, v4                                       // 00000000C598: 7E084504
	v_rcp_f32_e32 v5, v5                                       // 00000000C59C: 7E0A4505
	v_rcp_f32_e32 v6, v6                                       // 00000000C5A0: 7E0C4506
	v_rcp_f32_e32 v7, v7                                       // 00000000C5A4: 7E0E4507
	v_mul_f32_e32 v84, v84, v4                                 // 00000000C5A8: 0AA80954
	v_mul_f32_e32 v85, v85, v5                                 // 00000000C5AC: 0AAA0B55
	v_mul_f32_e32 v86, v86, v6                                 // 00000000C5B0: 0AAC0D56
	v_mul_f32_e32 v87, v87, v7                                 // 00000000C5B4: 0AAE0F57
	v_mul_f32_e32 v84, v84, v148                               // 00000000C5B8: 0AA92954
	v_mul_f32_e32 v85, v85, v149                               // 00000000C5BC: 0AAB2B55
	v_mul_f32_e32 v86, v86, v150                               // 00000000C5C0: 0AAD2D56
	v_mul_f32_e32 v87, v87, v151                               // 00000000C5C4: 0AAF2F57
	v_mul_f32_e64 v4, -v88, s6                                 // 00000000C5C8: D1050004 20000D58
	v_mul_f32_e64 v5, -v89, s6                                 // 00000000C5D0: D1050005 20000D59
	v_mul_f32_e64 v6, -v90, s6                                 // 00000000C5D8: D1050006 20000D5A
	v_mul_f32_e64 v7, -v91, s6                                 // 00000000C5E0: D1050007 20000D5B
	v_exp_f32_e32 v4, v4                                       // 00000000C5E8: 7E084104
	v_exp_f32_e32 v5, v5                                       // 00000000C5EC: 7E0A4105
	v_exp_f32_e32 v6, v6                                       // 00000000C5F0: 7E0C4106
	v_exp_f32_e32 v7, v7                                       // 00000000C5F4: 7E0E4107
	v_add_f32_e64 v4, v4, 1.0                                  // 00000000C5F8: D1010004 0001E504
	v_add_f32_e64 v5, v5, 1.0                                  // 00000000C600: D1010005 0001E505
	v_add_f32_e64 v6, v6, 1.0                                  // 00000000C608: D1010006 0001E506
	v_add_f32_e64 v7, v7, 1.0                                  // 00000000C610: D1010007 0001E507
	v_rcp_f32_e32 v4, v4                                       // 00000000C618: 7E084504
	v_rcp_f32_e32 v5, v5                                       // 00000000C61C: 7E0A4505
	v_rcp_f32_e32 v6, v6                                       // 00000000C620: 7E0C4506
	v_rcp_f32_e32 v7, v7                                       // 00000000C624: 7E0E4507
	v_mul_f32_e32 v88, v88, v4                                 // 00000000C628: 0AB00958
	v_mul_f32_e32 v89, v89, v5                                 // 00000000C62C: 0AB20B59
	v_mul_f32_e32 v90, v90, v6                                 // 00000000C630: 0AB40D5A
	v_mul_f32_e32 v91, v91, v7                                 // 00000000C634: 0AB60F5B
	v_mul_f32_e32 v88, v88, v152                               // 00000000C638: 0AB13158
	v_mul_f32_e32 v89, v89, v153                               // 00000000C63C: 0AB33359
	v_mul_f32_e32 v90, v90, v154                               // 00000000C640: 0AB5355A
	v_mul_f32_e32 v91, v91, v155                               // 00000000C644: 0AB7375B
	v_mul_f32_e64 v4, -v92, s6                                 // 00000000C648: D1050004 20000D5C
	v_mul_f32_e64 v5, -v93, s6                                 // 00000000C650: D1050005 20000D5D
	v_mul_f32_e64 v6, -v94, s6                                 // 00000000C658: D1050006 20000D5E
	v_mul_f32_e64 v7, -v95, s6                                 // 00000000C660: D1050007 20000D5F
	v_exp_f32_e32 v4, v4                                       // 00000000C668: 7E084104
	v_exp_f32_e32 v5, v5                                       // 00000000C66C: 7E0A4105
	v_exp_f32_e32 v6, v6                                       // 00000000C670: 7E0C4106
	v_exp_f32_e32 v7, v7                                       // 00000000C674: 7E0E4107
	v_add_f32_e64 v4, v4, 1.0                                  // 00000000C678: D1010004 0001E504
	v_add_f32_e64 v5, v5, 1.0                                  // 00000000C680: D1010005 0001E505
	v_add_f32_e64 v6, v6, 1.0                                  // 00000000C688: D1010006 0001E506
	v_add_f32_e64 v7, v7, 1.0                                  // 00000000C690: D1010007 0001E507
	v_rcp_f32_e32 v4, v4                                       // 00000000C698: 7E084504
	v_rcp_f32_e32 v5, v5                                       // 00000000C69C: 7E0A4505
	v_rcp_f32_e32 v6, v6                                       // 00000000C6A0: 7E0C4506
	v_rcp_f32_e32 v7, v7                                       // 00000000C6A4: 7E0E4507
	v_mul_f32_e32 v92, v92, v4                                 // 00000000C6A8: 0AB8095C
	v_mul_f32_e32 v93, v93, v5                                 // 00000000C6AC: 0ABA0B5D
	v_mul_f32_e32 v94, v94, v6                                 // 00000000C6B0: 0ABC0D5E
	v_mul_f32_e32 v95, v95, v7                                 // 00000000C6B4: 0ABE0F5F
	v_mul_f32_e32 v92, v92, v156                               // 00000000C6B8: 0AB9395C
	v_mul_f32_e32 v93, v93, v157                               // 00000000C6BC: 0ABB3B5D
	v_mul_f32_e32 v94, v94, v158                               // 00000000C6C0: 0ABD3D5E
	v_mul_f32_e32 v95, v95, v159                               // 00000000C6C4: 0ABF3F5F
	v_mul_f32_e64 v4, -v96, s6                                 // 00000000C6C8: D1050004 20000D60
	v_mul_f32_e64 v5, -v97, s6                                 // 00000000C6D0: D1050005 20000D61
	v_mul_f32_e64 v6, -v98, s6                                 // 00000000C6D8: D1050006 20000D62
	v_mul_f32_e64 v7, -v99, s6                                 // 00000000C6E0: D1050007 20000D63
	v_exp_f32_e32 v4, v4                                       // 00000000C6E8: 7E084104
	v_exp_f32_e32 v5, v5                                       // 00000000C6EC: 7E0A4105
	v_exp_f32_e32 v6, v6                                       // 00000000C6F0: 7E0C4106
	v_exp_f32_e32 v7, v7                                       // 00000000C6F4: 7E0E4107
	v_add_f32_e64 v4, v4, 1.0                                  // 00000000C6F8: D1010004 0001E504
	v_add_f32_e64 v5, v5, 1.0                                  // 00000000C700: D1010005 0001E505
	v_add_f32_e64 v6, v6, 1.0                                  // 00000000C708: D1010006 0001E506
	v_add_f32_e64 v7, v7, 1.0                                  // 00000000C710: D1010007 0001E507
	v_rcp_f32_e32 v4, v4                                       // 00000000C718: 7E084504
	v_rcp_f32_e32 v5, v5                                       // 00000000C71C: 7E0A4505
	v_rcp_f32_e32 v6, v6                                       // 00000000C720: 7E0C4506
	v_rcp_f32_e32 v7, v7                                       // 00000000C724: 7E0E4507
	v_mul_f32_e32 v96, v96, v4                                 // 00000000C728: 0AC00960
	v_mul_f32_e32 v97, v97, v5                                 // 00000000C72C: 0AC20B61
	v_mul_f32_e32 v98, v98, v6                                 // 00000000C730: 0AC40D62
	v_mul_f32_e32 v99, v99, v7                                 // 00000000C734: 0AC60F63
	v_mul_f32_e32 v96, v96, v160                               // 00000000C738: 0AC14160
	v_mul_f32_e32 v97, v97, v161                               // 00000000C73C: 0AC34361
	v_mul_f32_e32 v98, v98, v162                               // 00000000C740: 0AC54562
	v_mul_f32_e32 v99, v99, v163                               // 00000000C744: 0AC74763
	v_mul_f32_e64 v4, -v100, s6                                // 00000000C748: D1050004 20000D64
	v_mul_f32_e64 v5, -v101, s6                                // 00000000C750: D1050005 20000D65
	v_mul_f32_e64 v6, -v102, s6                                // 00000000C758: D1050006 20000D66
	v_mul_f32_e64 v7, -v103, s6                                // 00000000C760: D1050007 20000D67
	v_exp_f32_e32 v4, v4                                       // 00000000C768: 7E084104
	v_exp_f32_e32 v5, v5                                       // 00000000C76C: 7E0A4105
	v_exp_f32_e32 v6, v6                                       // 00000000C770: 7E0C4106
	v_exp_f32_e32 v7, v7                                       // 00000000C774: 7E0E4107
	v_add_f32_e64 v4, v4, 1.0                                  // 00000000C778: D1010004 0001E504
	v_add_f32_e64 v5, v5, 1.0                                  // 00000000C780: D1010005 0001E505
	v_add_f32_e64 v6, v6, 1.0                                  // 00000000C788: D1010006 0001E506
	v_add_f32_e64 v7, v7, 1.0                                  // 00000000C790: D1010007 0001E507
	v_rcp_f32_e32 v4, v4                                       // 00000000C798: 7E084504
	v_rcp_f32_e32 v5, v5                                       // 00000000C79C: 7E0A4505
	v_rcp_f32_e32 v6, v6                                       // 00000000C7A0: 7E0C4506
	v_rcp_f32_e32 v7, v7                                       // 00000000C7A4: 7E0E4507
	v_mul_f32_e32 v100, v100, v4                               // 00000000C7A8: 0AC80964
	v_mul_f32_e32 v101, v101, v5                               // 00000000C7AC: 0ACA0B65
	v_mul_f32_e32 v102, v102, v6                               // 00000000C7B0: 0ACC0D66
	v_mul_f32_e32 v103, v103, v7                               // 00000000C7B4: 0ACE0F67
	v_mul_f32_e32 v100, v100, v164                             // 00000000C7B8: 0AC94964
	v_mul_f32_e32 v101, v101, v165                             // 00000000C7BC: 0ACB4B65
	v_mul_f32_e32 v102, v102, v166                             // 00000000C7C0: 0ACD4D66
	v_mul_f32_e32 v103, v103, v167                             // 00000000C7C4: 0ACF4F67
	v_mul_f32_e64 v4, -v104, s6                                // 00000000C7C8: D1050004 20000D68
	v_mul_f32_e64 v5, -v105, s6                                // 00000000C7D0: D1050005 20000D69
	v_mul_f32_e64 v6, -v106, s6                                // 00000000C7D8: D1050006 20000D6A
	v_mul_f32_e64 v7, -v107, s6                                // 00000000C7E0: D1050007 20000D6B
	v_exp_f32_e32 v4, v4                                       // 00000000C7E8: 7E084104
	v_exp_f32_e32 v5, v5                                       // 00000000C7EC: 7E0A4105
	v_exp_f32_e32 v6, v6                                       // 00000000C7F0: 7E0C4106
	v_exp_f32_e32 v7, v7                                       // 00000000C7F4: 7E0E4107
	v_add_f32_e64 v4, v4, 1.0                                  // 00000000C7F8: D1010004 0001E504
	v_add_f32_e64 v5, v5, 1.0                                  // 00000000C800: D1010005 0001E505
	v_add_f32_e64 v6, v6, 1.0                                  // 00000000C808: D1010006 0001E506
	v_add_f32_e64 v7, v7, 1.0                                  // 00000000C810: D1010007 0001E507
	v_rcp_f32_e32 v4, v4                                       // 00000000C818: 7E084504
	v_rcp_f32_e32 v5, v5                                       // 00000000C81C: 7E0A4505
	v_rcp_f32_e32 v6, v6                                       // 00000000C820: 7E0C4506
	v_rcp_f32_e32 v7, v7                                       // 00000000C824: 7E0E4507
	v_mul_f32_e32 v104, v104, v4                               // 00000000C828: 0AD00968
	v_mul_f32_e32 v105, v105, v5                               // 00000000C82C: 0AD20B69
	v_mul_f32_e32 v106, v106, v6                               // 00000000C830: 0AD40D6A
	v_mul_f32_e32 v107, v107, v7                               // 00000000C834: 0AD60F6B
	v_mul_f32_e32 v104, v104, v168                             // 00000000C838: 0AD15168
	v_mul_f32_e32 v105, v105, v169                             // 00000000C83C: 0AD35369
	v_mul_f32_e32 v106, v106, v170                             // 00000000C840: 0AD5556A
	v_mul_f32_e32 v107, v107, v171                             // 00000000C844: 0AD7576B
	v_mul_f32_e64 v4, -v108, s6                                // 00000000C848: D1050004 20000D6C
	v_mul_f32_e64 v5, -v109, s6                                // 00000000C850: D1050005 20000D6D
	v_mul_f32_e64 v6, -v110, s6                                // 00000000C858: D1050006 20000D6E
	v_mul_f32_e64 v7, -v111, s6                                // 00000000C860: D1050007 20000D6F
	v_exp_f32_e32 v4, v4                                       // 00000000C868: 7E084104
	v_exp_f32_e32 v5, v5                                       // 00000000C86C: 7E0A4105
	v_exp_f32_e32 v6, v6                                       // 00000000C870: 7E0C4106
	v_exp_f32_e32 v7, v7                                       // 00000000C874: 7E0E4107
	v_add_f32_e64 v4, v4, 1.0                                  // 00000000C878: D1010004 0001E504
	v_add_f32_e64 v5, v5, 1.0                                  // 00000000C880: D1010005 0001E505
	v_add_f32_e64 v6, v6, 1.0                                  // 00000000C888: D1010006 0001E506
	v_add_f32_e64 v7, v7, 1.0                                  // 00000000C890: D1010007 0001E507
	v_rcp_f32_e32 v4, v4                                       // 00000000C898: 7E084504
	v_rcp_f32_e32 v5, v5                                       // 00000000C89C: 7E0A4505
	v_rcp_f32_e32 v6, v6                                       // 00000000C8A0: 7E0C4506
	v_rcp_f32_e32 v7, v7                                       // 00000000C8A4: 7E0E4507
	v_mul_f32_e32 v108, v108, v4                               // 00000000C8A8: 0AD8096C
	v_mul_f32_e32 v109, v109, v5                               // 00000000C8AC: 0ADA0B6D
	v_mul_f32_e32 v110, v110, v6                               // 00000000C8B0: 0ADC0D6E
	v_mul_f32_e32 v111, v111, v7                               // 00000000C8B4: 0ADE0F6F
	v_mul_f32_e32 v108, v108, v172                             // 00000000C8B8: 0AD9596C
	v_mul_f32_e32 v109, v109, v173                             // 00000000C8BC: 0ADB5B6D
	v_mul_f32_e32 v110, v110, v174                             // 00000000C8C0: 0ADD5D6E
	v_mul_f32_e32 v111, v111, v175                             // 00000000C8C4: 0ADF5F6F
	v_mul_f32_e64 v4, -v112, s6                                // 00000000C8C8: D1050004 20000D70
	v_mul_f32_e64 v5, -v113, s6                                // 00000000C8D0: D1050005 20000D71
	v_mul_f32_e64 v6, -v114, s6                                // 00000000C8D8: D1050006 20000D72
	v_mul_f32_e64 v7, -v115, s6                                // 00000000C8E0: D1050007 20000D73
	v_exp_f32_e32 v4, v4                                       // 00000000C8E8: 7E084104
	v_exp_f32_e32 v5, v5                                       // 00000000C8EC: 7E0A4105
	v_exp_f32_e32 v6, v6                                       // 00000000C8F0: 7E0C4106
	v_exp_f32_e32 v7, v7                                       // 00000000C8F4: 7E0E4107
	v_add_f32_e64 v4, v4, 1.0                                  // 00000000C8F8: D1010004 0001E504
	v_add_f32_e64 v5, v5, 1.0                                  // 00000000C900: D1010005 0001E505
	v_add_f32_e64 v6, v6, 1.0                                  // 00000000C908: D1010006 0001E506
	v_add_f32_e64 v7, v7, 1.0                                  // 00000000C910: D1010007 0001E507
	v_rcp_f32_e32 v4, v4                                       // 00000000C918: 7E084504
	v_rcp_f32_e32 v5, v5                                       // 00000000C91C: 7E0A4505
	v_rcp_f32_e32 v6, v6                                       // 00000000C920: 7E0C4506
	v_rcp_f32_e32 v7, v7                                       // 00000000C924: 7E0E4507
	v_mul_f32_e32 v112, v112, v4                               // 00000000C928: 0AE00970
	v_mul_f32_e32 v113, v113, v5                               // 00000000C92C: 0AE20B71
	v_mul_f32_e32 v114, v114, v6                               // 00000000C930: 0AE40D72
	v_mul_f32_e32 v115, v115, v7                               // 00000000C934: 0AE60F73
	v_mul_f32_e32 v112, v112, v176                             // 00000000C938: 0AE16170
	v_mul_f32_e32 v113, v113, v177                             // 00000000C93C: 0AE36371
	v_mul_f32_e32 v114, v114, v178                             // 00000000C940: 0AE56572
	v_mul_f32_e32 v115, v115, v179                             // 00000000C944: 0AE76773

000000000000c948 <label_27D5>:
	v_cmp_u_f32_e64 s[46:47], v52, v52                         // 00000000C948: D048002E 00026934
	v_add3_u32 v16, v52, v19, 1                                // 00000000C950: D1FF0010 02062734
	v_cndmask_b32_e64 v4, v16, v18, s[46:47]                   // 00000000C958: D1000004 00BA2510
	v_cmp_u_f32_e64 s[46:47], v53, v53                         // 00000000C960: D048002E 00026B35
	v_add3_u32 v16, v53, v19, 1                                // 00000000C968: D1FF0010 02062735
	v_cndmask_b32_e64 v5, v16, v18, s[46:47]                   // 00000000C970: D1000005 00BA2510
	v_perm_b32 v52, v5, v4, s52                                // 00000000C978: D1ED0034 00D20905
	v_cmp_u_f32_e64 s[46:47], v54, v54                         // 00000000C980: D048002E 00026D36
	v_add3_u32 v16, v54, v19, 1                                // 00000000C988: D1FF0010 02062736
	v_cndmask_b32_e64 v4, v16, v18, s[46:47]                   // 00000000C990: D1000004 00BA2510
	v_cmp_u_f32_e64 s[46:47], v55, v55                         // 00000000C998: D048002E 00026F37
	v_add3_u32 v16, v55, v19, 1                                // 00000000C9A0: D1FF0010 02062737
	v_cndmask_b32_e64 v5, v16, v18, s[46:47]                   // 00000000C9A8: D1000005 00BA2510
	v_perm_b32 v53, v5, v4, s52                                // 00000000C9B0: D1ED0035 00D20905
	v_cmp_u_f32_e64 s[46:47], v56, v56                         // 00000000C9B8: D048002E 00027138
	v_add3_u32 v16, v56, v19, 1                                // 00000000C9C0: D1FF0010 02062738
	v_cndmask_b32_e64 v4, v16, v18, s[46:47]                   // 00000000C9C8: D1000004 00BA2510
	v_cmp_u_f32_e64 s[46:47], v57, v57                         // 00000000C9D0: D048002E 00027339
	v_add3_u32 v16, v57, v19, 1                                // 00000000C9D8: D1FF0010 02062739
	v_cndmask_b32_e64 v5, v16, v18, s[46:47]                   // 00000000C9E0: D1000005 00BA2510
	v_perm_b32 v54, v5, v4, s52                                // 00000000C9E8: D1ED0036 00D20905
	v_cmp_u_f32_e64 s[46:47], v58, v58                         // 00000000C9F0: D048002E 0002753A
	v_add3_u32 v16, v58, v19, 1                                // 00000000C9F8: D1FF0010 0206273A
	v_cndmask_b32_e64 v4, v16, v18, s[46:47]                   // 00000000CA00: D1000004 00BA2510
	v_cmp_u_f32_e64 s[46:47], v59, v59                         // 00000000CA08: D048002E 0002773B
	v_add3_u32 v16, v59, v19, 1                                // 00000000CA10: D1FF0010 0206273B
	v_cndmask_b32_e64 v5, v16, v18, s[46:47]                   // 00000000CA18: D1000005 00BA2510
	v_perm_b32 v55, v5, v4, s52                                // 00000000CA20: D1ED0037 00D20905
	v_cmp_u_f32_e64 s[46:47], v60, v60                         // 00000000CA28: D048002E 0002793C
	v_add3_u32 v16, v60, v19, 1                                // 00000000CA30: D1FF0010 0206273C
	v_cndmask_b32_e64 v4, v16, v18, s[46:47]                   // 00000000CA38: D1000004 00BA2510
	v_cmp_u_f32_e64 s[46:47], v61, v61                         // 00000000CA40: D048002E 00027B3D
	v_add3_u32 v16, v61, v19, 1                                // 00000000CA48: D1FF0010 0206273D
	v_cndmask_b32_e64 v5, v16, v18, s[46:47]                   // 00000000CA50: D1000005 00BA2510
	v_perm_b32 v56, v5, v4, s52                                // 00000000CA58: D1ED0038 00D20905
	v_cmp_u_f32_e64 s[46:47], v62, v62                         // 00000000CA60: D048002E 00027D3E
	v_add3_u32 v16, v62, v19, 1                                // 00000000CA68: D1FF0010 0206273E
	v_cndmask_b32_e64 v4, v16, v18, s[46:47]                   // 00000000CA70: D1000004 00BA2510
	v_cmp_u_f32_e64 s[46:47], v63, v63                         // 00000000CA78: D048002E 00027F3F
	v_add3_u32 v16, v63, v19, 1                                // 00000000CA80: D1FF0010 0206273F
	v_cndmask_b32_e64 v5, v16, v18, s[46:47]                   // 00000000CA88: D1000005 00BA2510
	v_perm_b32 v57, v5, v4, s52                                // 00000000CA90: D1ED0039 00D20905
	v_cmp_u_f32_e64 s[46:47], v64, v64                         // 00000000CA98: D048002E 00028140
	v_add3_u32 v16, v64, v19, 1                                // 00000000CAA0: D1FF0010 02062740
	v_cndmask_b32_e64 v4, v16, v18, s[46:47]                   // 00000000CAA8: D1000004 00BA2510
	v_cmp_u_f32_e64 s[46:47], v65, v65                         // 00000000CAB0: D048002E 00028341
	v_add3_u32 v16, v65, v19, 1                                // 00000000CAB8: D1FF0010 02062741
	v_cndmask_b32_e64 v5, v16, v18, s[46:47]                   // 00000000CAC0: D1000005 00BA2510
	v_perm_b32 v58, v5, v4, s52                                // 00000000CAC8: D1ED003A 00D20905
	v_cmp_u_f32_e64 s[46:47], v66, v66                         // 00000000CAD0: D048002E 00028542
	v_add3_u32 v16, v66, v19, 1                                // 00000000CAD8: D1FF0010 02062742
	v_cndmask_b32_e64 v4, v16, v18, s[46:47]                   // 00000000CAE0: D1000004 00BA2510
	v_cmp_u_f32_e64 s[46:47], v67, v67                         // 00000000CAE8: D048002E 00028743
	v_add3_u32 v16, v67, v19, 1                                // 00000000CAF0: D1FF0010 02062743
	v_cndmask_b32_e64 v5, v16, v18, s[46:47]                   // 00000000CAF8: D1000005 00BA2510
	v_perm_b32 v59, v5, v4, s52                                // 00000000CB00: D1ED003B 00D20905
	v_cmp_u_f32_e64 s[46:47], v68, v68                         // 00000000CB08: D048002E 00028944
	v_add3_u32 v16, v68, v19, 1                                // 00000000CB10: D1FF0010 02062744
	v_cndmask_b32_e64 v4, v16, v18, s[46:47]                   // 00000000CB18: D1000004 00BA2510
	v_cmp_u_f32_e64 s[46:47], v69, v69                         // 00000000CB20: D048002E 00028B45
	v_add3_u32 v16, v69, v19, 1                                // 00000000CB28: D1FF0010 02062745
	v_cndmask_b32_e64 v5, v16, v18, s[46:47]                   // 00000000CB30: D1000005 00BA2510
	v_perm_b32 v60, v5, v4, s52                                // 00000000CB38: D1ED003C 00D20905
	v_cmp_u_f32_e64 s[46:47], v70, v70                         // 00000000CB40: D048002E 00028D46
	v_add3_u32 v16, v70, v19, 1                                // 00000000CB48: D1FF0010 02062746
	v_cndmask_b32_e64 v4, v16, v18, s[46:47]                   // 00000000CB50: D1000004 00BA2510
	v_cmp_u_f32_e64 s[46:47], v71, v71                         // 00000000CB58: D048002E 00028F47
	v_add3_u32 v16, v71, v19, 1                                // 00000000CB60: D1FF0010 02062747
	v_cndmask_b32_e64 v5, v16, v18, s[46:47]                   // 00000000CB68: D1000005 00BA2510
	v_perm_b32 v61, v5, v4, s52                                // 00000000CB70: D1ED003D 00D20905
	v_cmp_u_f32_e64 s[46:47], v72, v72                         // 00000000CB78: D048002E 00029148
	v_add3_u32 v16, v72, v19, 1                                // 00000000CB80: D1FF0010 02062748
	v_cndmask_b32_e64 v4, v16, v18, s[46:47]                   // 00000000CB88: D1000004 00BA2510
	v_cmp_u_f32_e64 s[46:47], v73, v73                         // 00000000CB90: D048002E 00029349
	v_add3_u32 v16, v73, v19, 1                                // 00000000CB98: D1FF0010 02062749
	v_cndmask_b32_e64 v5, v16, v18, s[46:47]                   // 00000000CBA0: D1000005 00BA2510
	v_perm_b32 v62, v5, v4, s52                                // 00000000CBA8: D1ED003E 00D20905
	v_cmp_u_f32_e64 s[46:47], v74, v74                         // 00000000CBB0: D048002E 0002954A
	v_add3_u32 v16, v74, v19, 1                                // 00000000CBB8: D1FF0010 0206274A
	v_cndmask_b32_e64 v4, v16, v18, s[46:47]                   // 00000000CBC0: D1000004 00BA2510
	v_cmp_u_f32_e64 s[46:47], v75, v75                         // 00000000CBC8: D048002E 0002974B
	v_add3_u32 v16, v75, v19, 1                                // 00000000CBD0: D1FF0010 0206274B
	v_cndmask_b32_e64 v5, v16, v18, s[46:47]                   // 00000000CBD8: D1000005 00BA2510
	v_perm_b32 v63, v5, v4, s52                                // 00000000CBE0: D1ED003F 00D20905
	v_cmp_u_f32_e64 s[46:47], v76, v76                         // 00000000CBE8: D048002E 0002994C
	v_add3_u32 v16, v76, v19, 1                                // 00000000CBF0: D1FF0010 0206274C
	v_cndmask_b32_e64 v4, v16, v18, s[46:47]                   // 00000000CBF8: D1000004 00BA2510
	v_cmp_u_f32_e64 s[46:47], v77, v77                         // 00000000CC00: D048002E 00029B4D
	v_add3_u32 v16, v77, v19, 1                                // 00000000CC08: D1FF0010 0206274D
	v_cndmask_b32_e64 v5, v16, v18, s[46:47]                   // 00000000CC10: D1000005 00BA2510
	v_perm_b32 v64, v5, v4, s52                                // 00000000CC18: D1ED0040 00D20905
	v_cmp_u_f32_e64 s[46:47], v78, v78                         // 00000000CC20: D048002E 00029D4E
	v_add3_u32 v16, v78, v19, 1                                // 00000000CC28: D1FF0010 0206274E
	v_cndmask_b32_e64 v4, v16, v18, s[46:47]                   // 00000000CC30: D1000004 00BA2510
	v_cmp_u_f32_e64 s[46:47], v79, v79                         // 00000000CC38: D048002E 00029F4F
	v_add3_u32 v16, v79, v19, 1                                // 00000000CC40: D1FF0010 0206274F
	v_cndmask_b32_e64 v5, v16, v18, s[46:47]                   // 00000000CC48: D1000005 00BA2510
	v_perm_b32 v65, v5, v4, s52                                // 00000000CC50: D1ED0041 00D20905
	v_cmp_u_f32_e64 s[46:47], v80, v80                         // 00000000CC58: D048002E 0002A150
	v_add3_u32 v16, v80, v19, 1                                // 00000000CC60: D1FF0010 02062750
	v_cndmask_b32_e64 v4, v16, v18, s[46:47]                   // 00000000CC68: D1000004 00BA2510
	v_cmp_u_f32_e64 s[46:47], v81, v81                         // 00000000CC70: D048002E 0002A351
	v_add3_u32 v16, v81, v19, 1                                // 00000000CC78: D1FF0010 02062751
	v_cndmask_b32_e64 v5, v16, v18, s[46:47]                   // 00000000CC80: D1000005 00BA2510
	v_perm_b32 v66, v5, v4, s52                                // 00000000CC88: D1ED0042 00D20905
	v_cmp_u_f32_e64 s[46:47], v82, v82                         // 00000000CC90: D048002E 0002A552
	v_add3_u32 v16, v82, v19, 1                                // 00000000CC98: D1FF0010 02062752
	v_cndmask_b32_e64 v4, v16, v18, s[46:47]                   // 00000000CCA0: D1000004 00BA2510
	v_cmp_u_f32_e64 s[46:47], v83, v83                         // 00000000CCA8: D048002E 0002A753
	v_add3_u32 v16, v83, v19, 1                                // 00000000CCB0: D1FF0010 02062753
	v_cndmask_b32_e64 v5, v16, v18, s[46:47]                   // 00000000CCB8: D1000005 00BA2510
	v_perm_b32 v67, v5, v4, s52                                // 00000000CCC0: D1ED0043 00D20905
	v_cmp_u_f32_e64 s[46:47], v84, v84                         // 00000000CCC8: D048002E 0002A954
	v_add3_u32 v16, v84, v19, 1                                // 00000000CCD0: D1FF0010 02062754
	v_cndmask_b32_e64 v4, v16, v18, s[46:47]                   // 00000000CCD8: D1000004 00BA2510
	v_cmp_u_f32_e64 s[46:47], v85, v85                         // 00000000CCE0: D048002E 0002AB55
	v_add3_u32 v16, v85, v19, 1                                // 00000000CCE8: D1FF0010 02062755
	v_cndmask_b32_e64 v5, v16, v18, s[46:47]                   // 00000000CCF0: D1000005 00BA2510
	v_perm_b32 v68, v5, v4, s52                                // 00000000CCF8: D1ED0044 00D20905
	v_cmp_u_f32_e64 s[46:47], v86, v86                         // 00000000CD00: D048002E 0002AD56
	v_add3_u32 v16, v86, v19, 1                                // 00000000CD08: D1FF0010 02062756
	v_cndmask_b32_e64 v4, v16, v18, s[46:47]                   // 00000000CD10: D1000004 00BA2510
	v_cmp_u_f32_e64 s[46:47], v87, v87                         // 00000000CD18: D048002E 0002AF57
	v_add3_u32 v16, v87, v19, 1                                // 00000000CD20: D1FF0010 02062757
	v_cndmask_b32_e64 v5, v16, v18, s[46:47]                   // 00000000CD28: D1000005 00BA2510
	v_perm_b32 v69, v5, v4, s52                                // 00000000CD30: D1ED0045 00D20905
	v_cmp_u_f32_e64 s[46:47], v88, v88                         // 00000000CD38: D048002E 0002B158
	v_add3_u32 v16, v88, v19, 1                                // 00000000CD40: D1FF0010 02062758
	v_cndmask_b32_e64 v4, v16, v18, s[46:47]                   // 00000000CD48: D1000004 00BA2510
	v_cmp_u_f32_e64 s[46:47], v89, v89                         // 00000000CD50: D048002E 0002B359
	v_add3_u32 v16, v89, v19, 1                                // 00000000CD58: D1FF0010 02062759
	v_cndmask_b32_e64 v5, v16, v18, s[46:47]                   // 00000000CD60: D1000005 00BA2510
	v_perm_b32 v70, v5, v4, s52                                // 00000000CD68: D1ED0046 00D20905
	v_cmp_u_f32_e64 s[46:47], v90, v90                         // 00000000CD70: D048002E 0002B55A
	v_add3_u32 v16, v90, v19, 1                                // 00000000CD78: D1FF0010 0206275A
	v_cndmask_b32_e64 v4, v16, v18, s[46:47]                   // 00000000CD80: D1000004 00BA2510
	v_cmp_u_f32_e64 s[46:47], v91, v91                         // 00000000CD88: D048002E 0002B75B
	v_add3_u32 v16, v91, v19, 1                                // 00000000CD90: D1FF0010 0206275B
	v_cndmask_b32_e64 v5, v16, v18, s[46:47]                   // 00000000CD98: D1000005 00BA2510
	v_perm_b32 v71, v5, v4, s52                                // 00000000CDA0: D1ED0047 00D20905
	v_cmp_u_f32_e64 s[46:47], v92, v92                         // 00000000CDA8: D048002E 0002B95C
	v_add3_u32 v16, v92, v19, 1                                // 00000000CDB0: D1FF0010 0206275C
	v_cndmask_b32_e64 v4, v16, v18, s[46:47]                   // 00000000CDB8: D1000004 00BA2510
	v_cmp_u_f32_e64 s[46:47], v93, v93                         // 00000000CDC0: D048002E 0002BB5D
	v_add3_u32 v16, v93, v19, 1                                // 00000000CDC8: D1FF0010 0206275D
	v_cndmask_b32_e64 v5, v16, v18, s[46:47]                   // 00000000CDD0: D1000005 00BA2510
	v_perm_b32 v72, v5, v4, s52                                // 00000000CDD8: D1ED0048 00D20905
	v_cmp_u_f32_e64 s[46:47], v94, v94                         // 00000000CDE0: D048002E 0002BD5E
	v_add3_u32 v16, v94, v19, 1                                // 00000000CDE8: D1FF0010 0206275E
	v_cndmask_b32_e64 v4, v16, v18, s[46:47]                   // 00000000CDF0: D1000004 00BA2510
	v_cmp_u_f32_e64 s[46:47], v95, v95                         // 00000000CDF8: D048002E 0002BF5F
	v_add3_u32 v16, v95, v19, 1                                // 00000000CE00: D1FF0010 0206275F
	v_cndmask_b32_e64 v5, v16, v18, s[46:47]                   // 00000000CE08: D1000005 00BA2510
	v_perm_b32 v73, v5, v4, s52                                // 00000000CE10: D1ED0049 00D20905
	v_cmp_u_f32_e64 s[46:47], v96, v96                         // 00000000CE18: D048002E 0002C160
	v_add3_u32 v16, v96, v19, 1                                // 00000000CE20: D1FF0010 02062760
	v_cndmask_b32_e64 v4, v16, v18, s[46:47]                   // 00000000CE28: D1000004 00BA2510
	v_cmp_u_f32_e64 s[46:47], v97, v97                         // 00000000CE30: D048002E 0002C361
	v_add3_u32 v16, v97, v19, 1                                // 00000000CE38: D1FF0010 02062761
	v_cndmask_b32_e64 v5, v16, v18, s[46:47]                   // 00000000CE40: D1000005 00BA2510
	v_perm_b32 v74, v5, v4, s52                                // 00000000CE48: D1ED004A 00D20905
	v_cmp_u_f32_e64 s[46:47], v98, v98                         // 00000000CE50: D048002E 0002C562
	v_add3_u32 v16, v98, v19, 1                                // 00000000CE58: D1FF0010 02062762
	v_cndmask_b32_e64 v4, v16, v18, s[46:47]                   // 00000000CE60: D1000004 00BA2510
	v_cmp_u_f32_e64 s[46:47], v99, v99                         // 00000000CE68: D048002E 0002C763
	v_add3_u32 v16, v99, v19, 1                                // 00000000CE70: D1FF0010 02062763
	v_cndmask_b32_e64 v5, v16, v18, s[46:47]                   // 00000000CE78: D1000005 00BA2510
	v_perm_b32 v75, v5, v4, s52                                // 00000000CE80: D1ED004B 00D20905
	v_cmp_u_f32_e64 s[46:47], v100, v100                       // 00000000CE88: D048002E 0002C964
	v_add3_u32 v16, v100, v19, 1                               // 00000000CE90: D1FF0010 02062764
	v_cndmask_b32_e64 v4, v16, v18, s[46:47]                   // 00000000CE98: D1000004 00BA2510
	v_cmp_u_f32_e64 s[46:47], v101, v101                       // 00000000CEA0: D048002E 0002CB65
	v_add3_u32 v16, v101, v19, 1                               // 00000000CEA8: D1FF0010 02062765
	v_cndmask_b32_e64 v5, v16, v18, s[46:47]                   // 00000000CEB0: D1000005 00BA2510
	v_perm_b32 v76, v5, v4, s52                                // 00000000CEB8: D1ED004C 00D20905
	v_cmp_u_f32_e64 s[46:47], v102, v102                       // 00000000CEC0: D048002E 0002CD66
	v_add3_u32 v16, v102, v19, 1                               // 00000000CEC8: D1FF0010 02062766
	v_cndmask_b32_e64 v4, v16, v18, s[46:47]                   // 00000000CED0: D1000004 00BA2510
	v_cmp_u_f32_e64 s[46:47], v103, v103                       // 00000000CED8: D048002E 0002CF67
	v_add3_u32 v16, v103, v19, 1                               // 00000000CEE0: D1FF0010 02062767
	v_cndmask_b32_e64 v5, v16, v18, s[46:47]                   // 00000000CEE8: D1000005 00BA2510
	v_perm_b32 v77, v5, v4, s52                                // 00000000CEF0: D1ED004D 00D20905
	v_cmp_u_f32_e64 s[46:47], v104, v104                       // 00000000CEF8: D048002E 0002D168
	v_add3_u32 v16, v104, v19, 1                               // 00000000CF00: D1FF0010 02062768
	v_cndmask_b32_e64 v4, v16, v18, s[46:47]                   // 00000000CF08: D1000004 00BA2510
	v_cmp_u_f32_e64 s[46:47], v105, v105                       // 00000000CF10: D048002E 0002D369
	v_add3_u32 v16, v105, v19, 1                               // 00000000CF18: D1FF0010 02062769
	v_cndmask_b32_e64 v5, v16, v18, s[46:47]                   // 00000000CF20: D1000005 00BA2510
	v_perm_b32 v78, v5, v4, s52                                // 00000000CF28: D1ED004E 00D20905
	v_cmp_u_f32_e64 s[46:47], v106, v106                       // 00000000CF30: D048002E 0002D56A
	v_add3_u32 v16, v106, v19, 1                               // 00000000CF38: D1FF0010 0206276A
	v_cndmask_b32_e64 v4, v16, v18, s[46:47]                   // 00000000CF40: D1000004 00BA2510
	v_cmp_u_f32_e64 s[46:47], v107, v107                       // 00000000CF48: D048002E 0002D76B
	v_add3_u32 v16, v107, v19, 1                               // 00000000CF50: D1FF0010 0206276B
	v_cndmask_b32_e64 v5, v16, v18, s[46:47]                   // 00000000CF58: D1000005 00BA2510
	v_perm_b32 v79, v5, v4, s52                                // 00000000CF60: D1ED004F 00D20905
	v_cmp_u_f32_e64 s[46:47], v108, v108                       // 00000000CF68: D048002E 0002D96C
	v_add3_u32 v16, v108, v19, 1                               // 00000000CF70: D1FF0010 0206276C
	v_cndmask_b32_e64 v4, v16, v18, s[46:47]                   // 00000000CF78: D1000004 00BA2510
	v_cmp_u_f32_e64 s[46:47], v109, v109                       // 00000000CF80: D048002E 0002DB6D
	v_add3_u32 v16, v109, v19, 1                               // 00000000CF88: D1FF0010 0206276D
	v_cndmask_b32_e64 v5, v16, v18, s[46:47]                   // 00000000CF90: D1000005 00BA2510
	v_perm_b32 v80, v5, v4, s52                                // 00000000CF98: D1ED0050 00D20905
	v_cmp_u_f32_e64 s[46:47], v110, v110                       // 00000000CFA0: D048002E 0002DD6E
	v_add3_u32 v16, v110, v19, 1                               // 00000000CFA8: D1FF0010 0206276E
	v_cndmask_b32_e64 v4, v16, v18, s[46:47]                   // 00000000CFB0: D1000004 00BA2510
	v_cmp_u_f32_e64 s[46:47], v111, v111                       // 00000000CFB8: D048002E 0002DF6F
	v_add3_u32 v16, v111, v19, 1                               // 00000000CFC0: D1FF0010 0206276F
	v_cndmask_b32_e64 v5, v16, v18, s[46:47]                   // 00000000CFC8: D1000005 00BA2510
	v_perm_b32 v81, v5, v4, s52                                // 00000000CFD0: D1ED0051 00D20905
	v_cmp_u_f32_e64 s[46:47], v112, v112                       // 00000000CFD8: D048002E 0002E170
	v_add3_u32 v16, v112, v19, 1                               // 00000000CFE0: D1FF0010 02062770
	v_cndmask_b32_e64 v4, v16, v18, s[46:47]                   // 00000000CFE8: D1000004 00BA2510
	v_cmp_u_f32_e64 s[46:47], v113, v113                       // 00000000CFF0: D048002E 0002E371
	v_add3_u32 v16, v113, v19, 1                               // 00000000CFF8: D1FF0010 02062771
	v_cndmask_b32_e64 v5, v16, v18, s[46:47]                   // 00000000D000: D1000005 00BA2510
	v_perm_b32 v82, v5, v4, s52                                // 00000000D008: D1ED0052 00D20905
	v_cmp_u_f32_e64 s[46:47], v114, v114                       // 00000000D010: D048002E 0002E572
	v_add3_u32 v16, v114, v19, 1                               // 00000000D018: D1FF0010 02062772
	v_cndmask_b32_e64 v4, v16, v18, s[46:47]                   // 00000000D020: D1000004 00BA2510
	v_cmp_u_f32_e64 s[46:47], v115, v115                       // 00000000D028: D048002E 0002E773
	v_add3_u32 v16, v115, v19, 1                               // 00000000D030: D1FF0010 02062773
	v_cndmask_b32_e64 v5, v16, v18, s[46:47]                   // 00000000D038: D1000005 00BA2510
	v_perm_b32 v83, v5, v4, s52                                // 00000000D040: D1ED0053 00D20905
	ds_write_b64 v20, v[52:53]                                 // 00000000D048: D89A0000 00003414
	ds_write_b64 v20, v[54:55] offset:17408                    // 00000000D050: D89A4400 00003614
	ds_write_b64 v20, v[56:57] offset:2176                     // 00000000D058: D89A0880 00003814
	ds_write_b64 v20, v[58:59] offset:19584                    // 00000000D060: D89A4C80 00003A14
	ds_write_b64 v20, v[60:61] offset:4352                     // 00000000D068: D89A1100 00003C14
	ds_write_b64 v20, v[62:63] offset:21760                    // 00000000D070: D89A5500 00003E14
	ds_write_b64 v20, v[64:65] offset:6528                     // 00000000D078: D89A1980 00004014
	ds_write_b64 v20, v[66:67] offset:23936                    // 00000000D080: D89A5D80 00004214
	ds_write_b64 v20, v[68:69] offset:8704                     // 00000000D088: D89A2200 00004414
	ds_write_b64 v20, v[70:71] offset:26112                    // 00000000D090: D89A6600 00004614
	ds_write_b64 v20, v[72:73] offset:10880                    // 00000000D098: D89A2A80 00004814
	ds_write_b64 v20, v[74:75] offset:28288                    // 00000000D0A0: D89A6E80 00004A14
	ds_write_b64 v20, v[76:77] offset:13056                    // 00000000D0A8: D89A3300 00004C14
	ds_write_b64 v20, v[78:79] offset:30464                    // 00000000D0B0: D89A7700 00004E14
	ds_write_b64 v20, v[80:81] offset:15232                    // 00000000D0B8: D89A3B80 00005014
	ds_write_b64 v20, v[82:83] offset:32640                    // 00000000D0C0: D89A7F80 00005214
	v_lshrrev_b32_e32 v4, 5, v0                                // 00000000D0C8: 20080085
	v_xor_b32_e32 v5, 1, v4                                    // 00000000D0CC: 2A0A0881
	s_mul_i32 s60, s65, 2                                      // 00000000D0D0: 923C8241
	s_cmp_eq_u32 s88, 0                                        // 00000000D0D4: BF068058
	s_cselect_b32 s61, 1, 4                                    // 00000000D0D8: 853D8481
	s_mul_i32 s60, s61, s60                                    // 00000000D0DC: 923C3C3D
	v_readlane_b32 s82, v3, 0                                  // 00000000D0E0: D2890052 00010103
	s_lshr_b32 s61, s82, 24                                    // 00000000D0E8: 8F3D9852
	s_and_b32 s82, s82, 0xffffff                               // 00000000D0EC: 8652FF52 00FFFFFF
	s_mul_i32 s82, s82, s71                                    // 00000000D0F4: 92524752
	s_mul_i32 s61, s60, s61                                    // 00000000D0F8: 923D3D3C
	s_add_u32 s82, s82, s61                                    // 00000000D0FC: 80523D52
	v_mul_lo_u32 v6, v5, s82                                   // 00000000D100: D2850006 0000A505
	v_readlane_b32 s82, v3, 1                                  // 00000000D108: D2890052 00010303
	s_lshr_b32 s61, s82, 24                                    // 00000000D110: 8F3D9852
	s_and_b32 s82, s82, 0xffffff                               // 00000000D114: 8652FF52 00FFFFFF
	s_mul_i32 s82, s82, s71                                    // 00000000D11C: 92524752
	s_mul_i32 s61, s60, s61                                    // 00000000D120: 923D3D3C
	s_add_u32 s82, s82, s61                                    // 00000000D124: 80523D52
	v_mul_lo_u32 v7, v4, s82                                   // 00000000D128: D2850007 0000A504
	v_add_u32_e32 v39, v6, v7                                  // 00000000D130: 684E0F06
	v_readlane_b32 s82, v3, 2                                  // 00000000D134: D2890052 00010503
	s_lshr_b32 s61, s82, 24                                    // 00000000D13C: 8F3D9852
	s_and_b32 s82, s82, 0xffffff                               // 00000000D140: 8652FF52 00FFFFFF
	s_mul_i32 s82, s82, s71                                    // 00000000D148: 92524752
	s_mul_i32 s61, s60, s61                                    // 00000000D14C: 923D3D3C
	s_add_u32 s82, s82, s61                                    // 00000000D150: 80523D52
	v_mul_lo_u32 v6, v5, s82                                   // 00000000D154: D2850006 0000A505
	v_readlane_b32 s82, v3, 3                                  // 00000000D15C: D2890052 00010703
	s_lshr_b32 s61, s82, 24                                    // 00000000D164: 8F3D9852
	s_and_b32 s82, s82, 0xffffff                               // 00000000D168: 8652FF52 00FFFFFF
	s_mul_i32 s82, s82, s71                                    // 00000000D170: 92524752
	s_mul_i32 s61, s60, s61                                    // 00000000D174: 923D3D3C
	s_add_u32 s82, s82, s61                                    // 00000000D178: 80523D52
	v_mul_lo_u32 v7, v4, s82                                   // 00000000D17C: D2850007 0000A504
	v_add_u32_e32 v40, v6, v7                                  // 00000000D184: 68500F06
	v_readlane_b32 s82, v3, 4                                  // 00000000D188: D2890052 00010903
	s_lshr_b32 s61, s82, 24                                    // 00000000D190: 8F3D9852
	s_and_b32 s82, s82, 0xffffff                               // 00000000D194: 8652FF52 00FFFFFF
	s_mul_i32 s82, s82, s71                                    // 00000000D19C: 92524752
	s_mul_i32 s61, s60, s61                                    // 00000000D1A0: 923D3D3C
	s_add_u32 s82, s82, s61                                    // 00000000D1A4: 80523D52
	v_mul_lo_u32 v6, v5, s82                                   // 00000000D1A8: D2850006 0000A505
	v_readlane_b32 s82, v3, 5                                  // 00000000D1B0: D2890052 00010B03
	s_lshr_b32 s61, s82, 24                                    // 00000000D1B8: 8F3D9852
	s_and_b32 s82, s82, 0xffffff                               // 00000000D1BC: 8652FF52 00FFFFFF
	s_mul_i32 s82, s82, s71                                    // 00000000D1C4: 92524752
	s_mul_i32 s61, s60, s61                                    // 00000000D1C8: 923D3D3C
	s_add_u32 s82, s82, s61                                    // 00000000D1CC: 80523D52
	v_mul_lo_u32 v7, v4, s82                                   // 00000000D1D0: D2850007 0000A504
	v_add_u32_e32 v41, v6, v7                                  // 00000000D1D8: 68520F06
	v_readlane_b32 s82, v3, 6                                  // 00000000D1DC: D2890052 00010D03
	s_lshr_b32 s61, s82, 24                                    // 00000000D1E4: 8F3D9852
	s_and_b32 s82, s82, 0xffffff                               // 00000000D1E8: 8652FF52 00FFFFFF
	s_mul_i32 s82, s82, s71                                    // 00000000D1F0: 92524752
	s_mul_i32 s61, s60, s61                                    // 00000000D1F4: 923D3D3C
	s_add_u32 s82, s82, s61                                    // 00000000D1F8: 80523D52
	v_mul_lo_u32 v6, v5, s82                                   // 00000000D1FC: D2850006 0000A505
	v_readlane_b32 s82, v3, 7                                  // 00000000D204: D2890052 00010F03
	s_lshr_b32 s61, s82, 24                                    // 00000000D20C: 8F3D9852
	s_and_b32 s82, s82, 0xffffff                               // 00000000D210: 8652FF52 00FFFFFF
	s_mul_i32 s82, s82, s71                                    // 00000000D218: 92524752
	s_mul_i32 s61, s60, s61                                    // 00000000D21C: 923D3D3C
	s_add_u32 s82, s82, s61                                    // 00000000D220: 80523D52
	v_mul_lo_u32 v7, v4, s82                                   // 00000000D224: D2850007 0000A504
	v_add_u32_e32 v42, v6, v7                                  // 00000000D22C: 68540F06
	v_and_b32_e32 v4, 31, v0                                   // 00000000D230: 2608009F
	v_lshrrev_b32_e32 v4, 1, v4                                // 00000000D234: 20080881
	s_cmp_eq_u32 s88, 0                                        // 00000000D238: BF068058
	s_cselect_b32 s61, 2, 4                                    // 00000000D23C: 853D8482
	v_mul_lo_u32 v4, v4, s61                                   // 00000000D240: D2850004 00007B04
	v_and_b32_e64 v5, v0, 1                                    // 00000000D248: D1130005 00010300
	v_add_u32_e32 v4, v4, v5                                   // 00000000D250: 68080B04
	v_lshlrev_b32_e32 v4, 2, v4                                // 00000000D254: 24080882
	v_add_u32_e32 v39, v39, v4                                 // 00000000D258: 684E0927
	v_add_u32_e32 v40, v40, v4                                 // 00000000D25C: 68500928
	v_add_u32_e32 v41, v41, v4                                 // 00000000D260: 68520929
	v_add_u32_e32 v42, v42, v4                                 // 00000000D264: 6854092A
	s_waitcnt lgkmcnt(0)                                       // 00000000D268: BF8CC07F
	s_barrier                                                  // 00000000D26C: BF8A0000
	ds_read_b32 v52, v21                                       // 00000000D270: D86C0000 34000015
	ds_read_b32 v53, v21 offset:64                             // 00000000D278: D86C0040 35000015
	ds_read_b32 v54, v21 offset:2176                           // 00000000D280: D86C0880 36000015
	ds_read_b32 v55, v21 offset:2240                           // 00000000D288: D86C08C0 37000015
	ds_read_b32 v56, v21 offset:4352                           // 00000000D290: D86C1100 38000015
	ds_read_b32 v57, v21 offset:4416                           // 00000000D298: D86C1140 39000015
	ds_read_b32 v58, v21 offset:6528                           // 00000000D2A0: D86C1980 3A000015
	ds_read_b32 v59, v21 offset:6592                           // 00000000D2A8: D86C19C0 3B000015
	ds_read_b32 v60, v21 offset:8704                           // 00000000D2B0: D86C2200 3C000015
	ds_read_b32 v61, v21 offset:8768                           // 00000000D2B8: D86C2240 3D000015
	ds_read_b32 v62, v21 offset:10880                          // 00000000D2C0: D86C2A80 3E000015
	ds_read_b32 v63, v21 offset:10944                          // 00000000D2C8: D86C2AC0 3F000015
	ds_read_b32 v64, v21 offset:13056                          // 00000000D2D0: D86C3300 40000015
	ds_read_b32 v65, v21 offset:13120                          // 00000000D2D8: D86C3340 41000015
	ds_read_b32 v66, v21 offset:15232                          // 00000000D2E0: D86C3B80 42000015
	ds_read_b32 v67, v21 offset:15296                          // 00000000D2E8: D86C3BC0 43000015
	ds_read_b32 v68, v21 offset:17408                          // 00000000D2F0: D86C4400 44000015
	ds_read_b32 v69, v21 offset:17472                          // 00000000D2F8: D86C4440 45000015
	ds_read_b32 v70, v21 offset:19584                          // 00000000D300: D86C4C80 46000015
	ds_read_b32 v71, v21 offset:19648                          // 00000000D308: D86C4CC0 47000015
	ds_read_b32 v72, v21 offset:21760                          // 00000000D310: D86C5500 48000015
	ds_read_b32 v73, v21 offset:21824                          // 00000000D318: D86C5540 49000015
	ds_read_b32 v74, v21 offset:23936                          // 00000000D320: D86C5D80 4A000015
	ds_read_b32 v75, v21 offset:24000                          // 00000000D328: D86C5DC0 4B000015
	ds_read_b32 v76, v21 offset:26112                          // 00000000D330: D86C6600 4C000015
	ds_read_b32 v77, v21 offset:26176                          // 00000000D338: D86C6640 4D000015
	ds_read_b32 v78, v21 offset:28288                          // 00000000D340: D86C6E80 4E000015
	ds_read_b32 v79, v21 offset:28352                          // 00000000D348: D86C6EC0 4F000015
	ds_read_b32 v80, v21 offset:30464                          // 00000000D350: D86C7700 50000015
	ds_read_b32 v81, v21 offset:30528                          // 00000000D358: D86C7740 51000015
	ds_read_b32 v82, v21 offset:32640                          // 00000000D360: D86C7F80 52000015
	ds_read_b32 v83, v21 offset:32704                          // 00000000D368: D86C7FC0 53000015
	s_waitcnt lgkmcnt(0)                                       // 00000000D370: BF8CC07F
	s_mov_b32 s36, -1                                          // 00000000D374: BEA400C1
	s_mov_b32 s37, -1                                          // 00000000D378: BEA500C1
	v_mov_b32_e32 v7, 0                                        // 00000000D37C: 7E0E0280
	s_or_b32 s9, s9, 0x40000                                   // 00000000D380: 8709FF09 00040000
	s_mov_b64 exec, s[36:37]                                   // 00000000D388: BEFE0124
	v_mov_b32_e32 v6, v39                                      // 00000000D38C: 7E0C0327
	s_mov_b64 s[60:61], 0                                      // 00000000D390: BEBC0180
	v_readlane_b32 s82, v3, 0                                  // 00000000D394: D2890052 00010103
	s_and_b32 s82, s82, 0xffffff                               // 00000000D39C: 8652FF52 00FFFFFF
	s_cmp_lt_u32 s82, s66                                      // 00000000D3A4: BF0A4252
	s_cselect_b32 s20, s36, s60                                // 00000000D3A8: 85143C24
	v_readlane_b32 s82, v3, 1                                  // 00000000D3AC: D2890052 00010303
	s_and_b32 s82, s82, 0xffffff                               // 00000000D3B4: 8652FF52 00FFFFFF
	s_cmp_lt_u32 s82, s66                                      // 00000000D3BC: BF0A4252
	s_cselect_b32 s21, s36, s60                                // 00000000D3C0: 85153C24
	s_mov_b64 exec, s[20:21]                                   // 00000000D3C4: BEFE0114
	buffer_store_dword v52, v6, s[8:11], 0 offen               // 00000000D3C8: E0701000 80023406
	buffer_store_dword v54, v6, s[8:11], 0 offen offset:128    // 00000000D3D0: E0701080 80023606
	buffer_store_dword v56, v6, s[8:11], 0 offen offset:256    // 00000000D3D8: E0701100 80023806
	buffer_store_dword v58, v6, s[8:11], 0 offen offset:384    // 00000000D3E0: E0701180 80023A06
	buffer_store_dword v60, v6, s[8:11], 0 offen offset:512    // 00000000D3E8: E0701200 80023C06
	buffer_store_dword v62, v6, s[8:11], 0 offen offset:640    // 00000000D3F0: E0701280 80023E06
	buffer_store_dword v64, v6, s[8:11], 0 offen offset:768    // 00000000D3F8: E0701300 80024006
	buffer_store_dword v66, v6, s[8:11], 0 offen offset:896    // 00000000D400: E0701380 80024206
	s_mov_b64 exec, s[36:37]                                   // 00000000D408: BEFE0124
	v_mov_b32_e32 v6, v40                                      // 00000000D40C: 7E0C0328
	s_mov_b64 s[60:61], 0                                      // 00000000D410: BEBC0180
	v_readlane_b32 s82, v3, 2                                  // 00000000D414: D2890052 00010503
	s_and_b32 s82, s82, 0xffffff                               // 00000000D41C: 8652FF52 00FFFFFF
	s_cmp_lt_u32 s82, s66                                      // 00000000D424: BF0A4252
	s_cselect_b32 s20, s36, s60                                // 00000000D428: 85143C24
	v_readlane_b32 s82, v3, 3                                  // 00000000D42C: D2890052 00010703
	s_and_b32 s82, s82, 0xffffff                               // 00000000D434: 8652FF52 00FFFFFF
	s_cmp_lt_u32 s82, s66                                      // 00000000D43C: BF0A4252
	s_cselect_b32 s21, s36, s60                                // 00000000D440: 85153C24
	s_mov_b64 exec, s[20:21]                                   // 00000000D444: BEFE0114
	buffer_store_dword v53, v6, s[8:11], 0 offen               // 00000000D448: E0701000 80023506
	buffer_store_dword v55, v6, s[8:11], 0 offen offset:128    // 00000000D450: E0701080 80023706
	buffer_store_dword v57, v6, s[8:11], 0 offen offset:256    // 00000000D458: E0701100 80023906
	buffer_store_dword v59, v6, s[8:11], 0 offen offset:384    // 00000000D460: E0701180 80023B06
	buffer_store_dword v61, v6, s[8:11], 0 offen offset:512    // 00000000D468: E0701200 80023D06
	buffer_store_dword v63, v6, s[8:11], 0 offen offset:640    // 00000000D470: E0701280 80023F06
	buffer_store_dword v65, v6, s[8:11], 0 offen offset:768    // 00000000D478: E0701300 80024106
	buffer_store_dword v67, v6, s[8:11], 0 offen offset:896    // 00000000D480: E0701380 80024306
	s_mov_b64 exec, s[36:37]                                   // 00000000D488: BEFE0124
	v_mov_b32_e32 v6, v41                                      // 00000000D48C: 7E0C0329
	s_mov_b64 s[60:61], 0                                      // 00000000D490: BEBC0180
	v_readlane_b32 s82, v3, 4                                  // 00000000D494: D2890052 00010903
	s_and_b32 s82, s82, 0xffffff                               // 00000000D49C: 8652FF52 00FFFFFF
	s_cmp_lt_u32 s82, s66                                      // 00000000D4A4: BF0A4252
	s_cselect_b32 s20, s36, s60                                // 00000000D4A8: 85143C24
	v_readlane_b32 s82, v3, 5                                  // 00000000D4AC: D2890052 00010B03
	s_and_b32 s82, s82, 0xffffff                               // 00000000D4B4: 8652FF52 00FFFFFF
	s_cmp_lt_u32 s82, s66                                      // 00000000D4BC: BF0A4252
	s_cselect_b32 s21, s36, s60                                // 00000000D4C0: 85153C24
	s_mov_b64 exec, s[20:21]                                   // 00000000D4C4: BEFE0114
	buffer_store_dword v68, v6, s[8:11], 0 offen               // 00000000D4C8: E0701000 80024406
	buffer_store_dword v70, v6, s[8:11], 0 offen offset:128    // 00000000D4D0: E0701080 80024606
	buffer_store_dword v72, v6, s[8:11], 0 offen offset:256    // 00000000D4D8: E0701100 80024806
	buffer_store_dword v74, v6, s[8:11], 0 offen offset:384    // 00000000D4E0: E0701180 80024A06
	buffer_store_dword v76, v6, s[8:11], 0 offen offset:512    // 00000000D4E8: E0701200 80024C06
	buffer_store_dword v78, v6, s[8:11], 0 offen offset:640    // 00000000D4F0: E0701280 80024E06
	buffer_store_dword v80, v6, s[8:11], 0 offen offset:768    // 00000000D4F8: E0701300 80025006
	buffer_store_dword v82, v6, s[8:11], 0 offen offset:896    // 00000000D500: E0701380 80025206
	s_mov_b64 exec, s[36:37]                                   // 00000000D508: BEFE0124
	v_mov_b32_e32 v6, v42                                      // 00000000D50C: 7E0C032A
	s_mov_b64 s[60:61], 0                                      // 00000000D510: BEBC0180
	v_readlane_b32 s82, v3, 6                                  // 00000000D514: D2890052 00010D03
	s_and_b32 s82, s82, 0xffffff                               // 00000000D51C: 8652FF52 00FFFFFF
	s_cmp_lt_u32 s82, s66                                      // 00000000D524: BF0A4252
	s_cselect_b32 s20, s36, s60                                // 00000000D528: 85143C24
	v_readlane_b32 s82, v3, 7                                  // 00000000D52C: D2890052 00010F03
	s_and_b32 s82, s82, 0xffffff                               // 00000000D534: 8652FF52 00FFFFFF
	s_cmp_lt_u32 s82, s66                                      // 00000000D53C: BF0A4252
	s_cselect_b32 s21, s36, s60                                // 00000000D540: 85153C24
	s_mov_b64 exec, s[20:21]                                   // 00000000D544: BEFE0114
	buffer_store_dword v69, v6, s[8:11], 0 offen               // 00000000D548: E0701000 80024506
	buffer_store_dword v71, v6, s[8:11], 0 offen offset:128    // 00000000D550: E0701080 80024706
	buffer_store_dword v73, v6, s[8:11], 0 offen offset:256    // 00000000D558: E0701100 80024906
	buffer_store_dword v75, v6, s[8:11], 0 offen offset:384    // 00000000D560: E0701180 80024B06
	buffer_store_dword v77, v6, s[8:11], 0 offen offset:512    // 00000000D568: E0701200 80024D06
	buffer_store_dword v79, v6, s[8:11], 0 offen offset:640    // 00000000D570: E0701280 80024F06
	buffer_store_dword v81, v6, s[8:11], 0 offen offset:768    // 00000000D578: E0701300 80025106
	buffer_store_dword v83, v6, s[8:11], 0 offen offset:896    // 00000000D580: E0701380 80025306
	s_mov_b64 exec, s[36:37]                                   // 00000000D588: BEFE0124
	s_branch label_2EE9                                        // 00000000D58C: BF820402

000000000000d590 <label_2AE7>:
	ds_write_b64 v20, v[52:53]                                 // 00000000D590: D89A0000 00003414
	ds_write_b64 v20, v[56:57] offset:17408                    // 00000000D598: D89A4400 00003814
	ds_write_b64 v20, v[60:61] offset:2176                     // 00000000D5A0: D89A0880 00003C14
	ds_write_b64 v20, v[64:65] offset:19584                    // 00000000D5A8: D89A4C80 00004014
	ds_write_b64 v20, v[68:69] offset:4352                     // 00000000D5B0: D89A1100 00004414
	ds_write_b64 v20, v[72:73] offset:21760                    // 00000000D5B8: D89A5500 00004814
	ds_write_b64 v20, v[76:77] offset:6528                     // 00000000D5C0: D89A1980 00004C14
	ds_write_b64 v20, v[80:81] offset:23936                    // 00000000D5C8: D89A5D80 00005014
	ds_write_b64 v20, v[84:85] offset:8704                     // 00000000D5D0: D89A2200 00005414
	ds_write_b64 v20, v[88:89] offset:26112                    // 00000000D5D8: D89A6600 00005814
	ds_write_b64 v20, v[92:93] offset:10880                    // 00000000D5E0: D89A2A80 00005C14
	ds_write_b64 v20, v[96:97] offset:28288                    // 00000000D5E8: D89A6E80 00006014
	ds_write_b64 v20, v[100:101] offset:13056                  // 00000000D5F0: D89A3300 00006414
	ds_write_b64 v20, v[104:105] offset:30464                  // 00000000D5F8: D89A7700 00006814
	ds_write_b64 v20, v[108:109] offset:15232                  // 00000000D600: D89A3B80 00006C14
	ds_write_b64 v20, v[112:113] offset:32640                  // 00000000D608: D89A7F80 00007014
	v_lshrrev_b32_e32 v4, 5, v0                                // 00000000D610: 20080085
	v_xor_b32_e32 v5, 1, v4                                    // 00000000D614: 2A0A0881
	s_mul_i32 s60, s65, 2                                      // 00000000D618: 923C8241
	s_cmp_eq_u32 s88, 0                                        // 00000000D61C: BF068058
	s_cselect_b32 s61, 1, 4                                    // 00000000D620: 853D8481
	s_mul_i32 s60, s61, s60                                    // 00000000D624: 923C3C3D
	v_readlane_b32 s82, v3, 0                                  // 00000000D628: D2890052 00010103
	s_lshr_b32 s61, s82, 24                                    // 00000000D630: 8F3D9852
	s_and_b32 s82, s82, 0xffffff                               // 00000000D634: 8652FF52 00FFFFFF
	s_mul_i32 s82, s82, s71                                    // 00000000D63C: 92524752
	s_mul_i32 s61, s60, s61                                    // 00000000D640: 923D3D3C
	s_add_u32 s82, s82, s61                                    // 00000000D644: 80523D52
	v_mul_lo_u32 v6, v5, s82                                   // 00000000D648: D2850006 0000A505
	v_readlane_b32 s82, v3, 1                                  // 00000000D650: D2890052 00010303
	s_lshr_b32 s61, s82, 24                                    // 00000000D658: 8F3D9852
	s_and_b32 s82, s82, 0xffffff                               // 00000000D65C: 8652FF52 00FFFFFF
	s_mul_i32 s82, s82, s71                                    // 00000000D664: 92524752
	s_mul_i32 s61, s60, s61                                    // 00000000D668: 923D3D3C
	s_add_u32 s82, s82, s61                                    // 00000000D66C: 80523D52
	v_mul_lo_u32 v7, v4, s82                                   // 00000000D670: D2850007 0000A504
	v_add_u32_e32 v39, v6, v7                                  // 00000000D678: 684E0F06
	v_readlane_b32 s82, v3, 2                                  // 00000000D67C: D2890052 00010503
	s_lshr_b32 s61, s82, 24                                    // 00000000D684: 8F3D9852
	s_and_b32 s82, s82, 0xffffff                               // 00000000D688: 8652FF52 00FFFFFF
	s_mul_i32 s82, s82, s71                                    // 00000000D690: 92524752
	s_mul_i32 s61, s60, s61                                    // 00000000D694: 923D3D3C
	s_add_u32 s82, s82, s61                                    // 00000000D698: 80523D52
	v_mul_lo_u32 v6, v5, s82                                   // 00000000D69C: D2850006 0000A505
	v_readlane_b32 s82, v3, 3                                  // 00000000D6A4: D2890052 00010703
	s_lshr_b32 s61, s82, 24                                    // 00000000D6AC: 8F3D9852
	s_and_b32 s82, s82, 0xffffff                               // 00000000D6B0: 8652FF52 00FFFFFF
	s_mul_i32 s82, s82, s71                                    // 00000000D6B8: 92524752
	s_mul_i32 s61, s60, s61                                    // 00000000D6BC: 923D3D3C
	s_add_u32 s82, s82, s61                                    // 00000000D6C0: 80523D52
	v_mul_lo_u32 v7, v4, s82                                   // 00000000D6C4: D2850007 0000A504
	v_add_u32_e32 v40, v6, v7                                  // 00000000D6CC: 68500F06
	v_readlane_b32 s82, v3, 4                                  // 00000000D6D0: D2890052 00010903
	s_lshr_b32 s61, s82, 24                                    // 00000000D6D8: 8F3D9852
	s_and_b32 s82, s82, 0xffffff                               // 00000000D6DC: 8652FF52 00FFFFFF
	s_mul_i32 s82, s82, s71                                    // 00000000D6E4: 92524752
	s_mul_i32 s61, s60, s61                                    // 00000000D6E8: 923D3D3C
	s_add_u32 s82, s82, s61                                    // 00000000D6EC: 80523D52
	v_mul_lo_u32 v6, v5, s82                                   // 00000000D6F0: D2850006 0000A505
	v_readlane_b32 s82, v3, 5                                  // 00000000D6F8: D2890052 00010B03
	s_lshr_b32 s61, s82, 24                                    // 00000000D700: 8F3D9852
	s_and_b32 s82, s82, 0xffffff                               // 00000000D704: 8652FF52 00FFFFFF
	s_mul_i32 s82, s82, s71                                    // 00000000D70C: 92524752
	s_mul_i32 s61, s60, s61                                    // 00000000D710: 923D3D3C
	s_add_u32 s82, s82, s61                                    // 00000000D714: 80523D52
	v_mul_lo_u32 v7, v4, s82                                   // 00000000D718: D2850007 0000A504
	v_add_u32_e32 v41, v6, v7                                  // 00000000D720: 68520F06
	v_readlane_b32 s82, v3, 6                                  // 00000000D724: D2890052 00010D03
	s_lshr_b32 s61, s82, 24                                    // 00000000D72C: 8F3D9852
	s_and_b32 s82, s82, 0xffffff                               // 00000000D730: 8652FF52 00FFFFFF
	s_mul_i32 s82, s82, s71                                    // 00000000D738: 92524752
	s_mul_i32 s61, s60, s61                                    // 00000000D73C: 923D3D3C
	s_add_u32 s82, s82, s61                                    // 00000000D740: 80523D52
	v_mul_lo_u32 v6, v5, s82                                   // 00000000D744: D2850006 0000A505
	v_readlane_b32 s82, v3, 7                                  // 00000000D74C: D2890052 00010F03
	s_lshr_b32 s61, s82, 24                                    // 00000000D754: 8F3D9852
	s_and_b32 s82, s82, 0xffffff                               // 00000000D758: 8652FF52 00FFFFFF
	s_mul_i32 s82, s82, s71                                    // 00000000D760: 92524752
	s_mul_i32 s61, s60, s61                                    // 00000000D764: 923D3D3C
	s_add_u32 s82, s82, s61                                    // 00000000D768: 80523D52
	v_mul_lo_u32 v7, v4, s82                                   // 00000000D76C: D2850007 0000A504
	v_add_u32_e32 v42, v6, v7                                  // 00000000D774: 68540F06
	v_and_b32_e32 v4, 31, v0                                   // 00000000D778: 2608009F
	v_lshrrev_b32_e32 v4, 1, v4                                // 00000000D77C: 20080881
	s_cmp_eq_u32 s88, 0                                        // 00000000D780: BF068058
	s_cselect_b32 s61, 2, 4                                    // 00000000D784: 853D8482
	v_mul_lo_u32 v4, v4, s61                                   // 00000000D788: D2850004 00007B04
	v_and_b32_e64 v5, v0, 1                                    // 00000000D790: D1130005 00010300
	v_add_u32_e32 v4, v4, v5                                   // 00000000D798: 68080B04
	v_lshlrev_b32_e32 v4, 2, v4                                // 00000000D79C: 24080882
	v_add_u32_e32 v39, v39, v4                                 // 00000000D7A0: 684E0927
	v_add_u32_e32 v40, v40, v4                                 // 00000000D7A4: 68500928
	v_add_u32_e32 v41, v41, v4                                 // 00000000D7A8: 68520929
	v_add_u32_e32 v42, v42, v4                                 // 00000000D7AC: 6854092A
	s_waitcnt lgkmcnt(0)                                       // 00000000D7B0: BF8CC07F
	s_barrier                                                  // 00000000D7B4: BF8A0000
	ds_read_b32 v52, v21                                       // 00000000D7B8: D86C0000 34000015
	ds_read_b32 v53, v21 offset:64                             // 00000000D7C0: D86C0040 35000015
	ds_read_b32 v56, v21 offset:2176                           // 00000000D7C8: D86C0880 38000015
	ds_read_b32 v57, v21 offset:2240                           // 00000000D7D0: D86C08C0 39000015
	ds_read_b32 v60, v21 offset:4352                           // 00000000D7D8: D86C1100 3C000015
	ds_read_b32 v61, v21 offset:4416                           // 00000000D7E0: D86C1140 3D000015
	ds_read_b32 v64, v21 offset:6528                           // 00000000D7E8: D86C1980 40000015
	ds_read_b32 v65, v21 offset:6592                           // 00000000D7F0: D86C19C0 41000015
	ds_read_b32 v68, v21 offset:8704                           // 00000000D7F8: D86C2200 44000015
	ds_read_b32 v69, v21 offset:8768                           // 00000000D800: D86C2240 45000015
	ds_read_b32 v72, v21 offset:10880                          // 00000000D808: D86C2A80 48000015
	ds_read_b32 v73, v21 offset:10944                          // 00000000D810: D86C2AC0 49000015
	ds_read_b32 v76, v21 offset:13056                          // 00000000D818: D86C3300 4C000015
	ds_read_b32 v77, v21 offset:13120                          // 00000000D820: D86C3340 4D000015
	ds_read_b32 v80, v21 offset:15232                          // 00000000D828: D86C3B80 50000015
	ds_read_b32 v81, v21 offset:15296                          // 00000000D830: D86C3BC0 51000015
	ds_read_b32 v84, v21 offset:17408                          // 00000000D838: D86C4400 54000015
	ds_read_b32 v85, v21 offset:17472                          // 00000000D840: D86C4440 55000015
	ds_read_b32 v88, v21 offset:19584                          // 00000000D848: D86C4C80 58000015
	ds_read_b32 v89, v21 offset:19648                          // 00000000D850: D86C4CC0 59000015
	ds_read_b32 v92, v21 offset:21760                          // 00000000D858: D86C5500 5C000015
	ds_read_b32 v93, v21 offset:21824                          // 00000000D860: D86C5540 5D000015
	ds_read_b32 v96, v21 offset:23936                          // 00000000D868: D86C5D80 60000015
	ds_read_b32 v97, v21 offset:24000                          // 00000000D870: D86C5DC0 61000015
	ds_read_b32 v100, v21 offset:26112                         // 00000000D878: D86C6600 64000015
	ds_read_b32 v101, v21 offset:26176                         // 00000000D880: D86C6640 65000015
	ds_read_b32 v104, v21 offset:28288                         // 00000000D888: D86C6E80 68000015
	ds_read_b32 v105, v21 offset:28352                         // 00000000D890: D86C6EC0 69000015
	ds_read_b32 v108, v21 offset:30464                         // 00000000D898: D86C7700 6C000015
	ds_read_b32 v109, v21 offset:30528                         // 00000000D8A0: D86C7740 6D000015
	ds_read_b32 v112, v21 offset:32640                         // 00000000D8A8: D86C7F80 70000015
	ds_read_b32 v113, v21 offset:32704                         // 00000000D8B0: D86C7FC0 71000015
	s_waitcnt lgkmcnt(0)                                       // 00000000D8B8: BF8CC07F
	s_mov_b32 s36, -1                                          // 00000000D8BC: BEA400C1
	s_mov_b32 s37, -1                                          // 00000000D8C0: BEA500C1
	v_mov_b32_e32 v7, 0                                        // 00000000D8C4: 7E0E0280
	s_mov_b64 exec, s[36:37]                                   // 00000000D8C8: BEFE0124
	v_mov_b32_e32 v6, v39                                      // 00000000D8CC: 7E0C0327
	s_mov_b64 s[60:61], 0                                      // 00000000D8D0: BEBC0180
	v_readlane_b32 s82, v3, 0                                  // 00000000D8D4: D2890052 00010103
	s_and_b32 s82, s82, 0xffffff                               // 00000000D8DC: 8652FF52 00FFFFFF
	s_cmp_lt_u32 s82, s66                                      // 00000000D8E4: BF0A4252
	s_cselect_b32 s20, s36, s60                                // 00000000D8E8: 85143C24
	v_readlane_b32 s82, v3, 1                                  // 00000000D8EC: D2890052 00010303
	s_and_b32 s82, s82, 0xffffff                               // 00000000D8F4: 8652FF52 00FFFFFF
	s_cmp_lt_u32 s82, s66                                      // 00000000D8FC: BF0A4252
	s_cselect_b32 s21, s36, s60                                // 00000000D900: 85153C24
	s_mov_b64 exec, s[20:21]                                   // 00000000D904: BEFE0114
	global_atomic_add_f32 v6, v52, s[8:9]                      // 00000000D908: DD348000 00083406
	global_atomic_add_f32 v6, v56, s[8:9] offset:256           // 00000000D910: DD348100 00083806
	global_atomic_add_f32 v6, v60, s[8:9] offset:512           // 00000000D918: DD348200 00083C06
	global_atomic_add_f32 v6, v64, s[8:9] offset:768           // 00000000D920: DD348300 00084006
	global_atomic_add_f32 v6, v68, s[8:9] offset:1024          // 00000000D928: DD348400 00084406
	global_atomic_add_f32 v6, v72, s[8:9] offset:1280          // 00000000D930: DD348500 00084806
	global_atomic_add_f32 v6, v76, s[8:9] offset:1536          // 00000000D938: DD348600 00084C06
	global_atomic_add_f32 v6, v80, s[8:9] offset:1792          // 00000000D940: DD348700 00085006
	s_mov_b64 exec, s[36:37]                                   // 00000000D948: BEFE0124
	v_mov_b32_e32 v6, v40                                      // 00000000D94C: 7E0C0328
	s_mov_b64 s[60:61], 0                                      // 00000000D950: BEBC0180
	v_readlane_b32 s82, v3, 2                                  // 00000000D954: D2890052 00010503
	s_and_b32 s82, s82, 0xffffff                               // 00000000D95C: 8652FF52 00FFFFFF
	s_cmp_lt_u32 s82, s66                                      // 00000000D964: BF0A4252
	s_cselect_b32 s20, s36, s60                                // 00000000D968: 85143C24
	v_readlane_b32 s82, v3, 3                                  // 00000000D96C: D2890052 00010703
	s_and_b32 s82, s82, 0xffffff                               // 00000000D974: 8652FF52 00FFFFFF
	s_cmp_lt_u32 s82, s66                                      // 00000000D97C: BF0A4252
	s_cselect_b32 s21, s36, s60                                // 00000000D980: 85153C24
	s_mov_b64 exec, s[20:21]                                   // 00000000D984: BEFE0114
	global_atomic_add_f32 v6, v53, s[8:9]                      // 00000000D988: DD348000 00083506
	global_atomic_add_f32 v6, v57, s[8:9] offset:256           // 00000000D990: DD348100 00083906
	global_atomic_add_f32 v6, v61, s[8:9] offset:512           // 00000000D998: DD348200 00083D06
	global_atomic_add_f32 v6, v65, s[8:9] offset:768           // 00000000D9A0: DD348300 00084106
	global_atomic_add_f32 v6, v69, s[8:9] offset:1024          // 00000000D9A8: DD348400 00084506
	global_atomic_add_f32 v6, v73, s[8:9] offset:1280          // 00000000D9B0: DD348500 00084906
	global_atomic_add_f32 v6, v77, s[8:9] offset:1536          // 00000000D9B8: DD348600 00084D06
	global_atomic_add_f32 v6, v81, s[8:9] offset:1792          // 00000000D9C0: DD348700 00085106
	s_mov_b64 exec, s[36:37]                                   // 00000000D9C8: BEFE0124
	v_mov_b32_e32 v6, v41                                      // 00000000D9CC: 7E0C0329
	s_mov_b64 s[60:61], 0                                      // 00000000D9D0: BEBC0180
	v_readlane_b32 s82, v3, 4                                  // 00000000D9D4: D2890052 00010903
	s_and_b32 s82, s82, 0xffffff                               // 00000000D9DC: 8652FF52 00FFFFFF
	s_cmp_lt_u32 s82, s66                                      // 00000000D9E4: BF0A4252
	s_cselect_b32 s20, s36, s60                                // 00000000D9E8: 85143C24
	v_readlane_b32 s82, v3, 5                                  // 00000000D9EC: D2890052 00010B03
	s_and_b32 s82, s82, 0xffffff                               // 00000000D9F4: 8652FF52 00FFFFFF
	s_cmp_lt_u32 s82, s66                                      // 00000000D9FC: BF0A4252
	s_cselect_b32 s21, s36, s60                                // 00000000DA00: 85153C24
	s_mov_b64 exec, s[20:21]                                   // 00000000DA04: BEFE0114
	global_atomic_add_f32 v6, v84, s[8:9]                      // 00000000DA08: DD348000 00085406
	global_atomic_add_f32 v6, v88, s[8:9] offset:256           // 00000000DA10: DD348100 00085806
	global_atomic_add_f32 v6, v92, s[8:9] offset:512           // 00000000DA18: DD348200 00085C06
	global_atomic_add_f32 v6, v96, s[8:9] offset:768           // 00000000DA20: DD348300 00086006
	global_atomic_add_f32 v6, v100, s[8:9] offset:1024         // 00000000DA28: DD348400 00086406
	global_atomic_add_f32 v6, v104, s[8:9] offset:1280         // 00000000DA30: DD348500 00086806
	global_atomic_add_f32 v6, v108, s[8:9] offset:1536         // 00000000DA38: DD348600 00086C06
	global_atomic_add_f32 v6, v112, s[8:9] offset:1792         // 00000000DA40: DD348700 00087006
	s_mov_b64 exec, s[36:37]                                   // 00000000DA48: BEFE0124
	v_mov_b32_e32 v6, v42                                      // 00000000DA4C: 7E0C032A
	s_mov_b64 s[60:61], 0                                      // 00000000DA50: BEBC0180
	v_readlane_b32 s82, v3, 6                                  // 00000000DA54: D2890052 00010D03
	s_and_b32 s82, s82, 0xffffff                               // 00000000DA5C: 8652FF52 00FFFFFF
	s_cmp_lt_u32 s82, s66                                      // 00000000DA64: BF0A4252
	s_cselect_b32 s20, s36, s60                                // 00000000DA68: 85143C24
	v_readlane_b32 s82, v3, 7                                  // 00000000DA6C: D2890052 00010F03
	s_and_b32 s82, s82, 0xffffff                               // 00000000DA74: 8652FF52 00FFFFFF
	s_cmp_lt_u32 s82, s66                                      // 00000000DA7C: BF0A4252
	s_cselect_b32 s21, s36, s60                                // 00000000DA80: 85153C24
	s_mov_b64 exec, s[20:21]                                   // 00000000DA84: BEFE0114
	global_atomic_add_f32 v6, v85, s[8:9]                      // 00000000DA88: DD348000 00085506
	global_atomic_add_f32 v6, v89, s[8:9] offset:256           // 00000000DA90: DD348100 00085906
	global_atomic_add_f32 v6, v93, s[8:9] offset:512           // 00000000DA98: DD348200 00085D06
	global_atomic_add_f32 v6, v97, s[8:9] offset:768           // 00000000DAA0: DD348300 00086106
	global_atomic_add_f32 v6, v101, s[8:9] offset:1024         // 00000000DAA8: DD348400 00086506
	global_atomic_add_f32 v6, v105, s[8:9] offset:1280         // 00000000DAB0: DD348500 00086906
	global_atomic_add_f32 v6, v109, s[8:9] offset:1536         // 00000000DAB8: DD348600 00086D06
	global_atomic_add_f32 v6, v113, s[8:9] offset:1792         // 00000000DAC0: DD348700 00087106
	s_mov_b64 exec, s[36:37]                                   // 00000000DAC8: BEFE0124
	ds_write_b64 v20, v[54:55]                                 // 00000000DACC: D89A0000 00003614
	ds_write_b64 v20, v[58:59] offset:17408                    // 00000000DAD4: D89A4400 00003A14
	ds_write_b64 v20, v[62:63] offset:2176                     // 00000000DADC: D89A0880 00003E14
	ds_write_b64 v20, v[66:67] offset:19584                    // 00000000DAE4: D89A4C80 00004214
	ds_write_b64 v20, v[70:71] offset:4352                     // 00000000DAEC: D89A1100 00004614
	ds_write_b64 v20, v[74:75] offset:21760                    // 00000000DAF4: D89A5500 00004A14
	ds_write_b64 v20, v[78:79] offset:6528                     // 00000000DAFC: D89A1980 00004E14
	ds_write_b64 v20, v[82:83] offset:23936                    // 00000000DB04: D89A5D80 00005214
	ds_write_b64 v20, v[86:87] offset:8704                     // 00000000DB0C: D89A2200 00005614
	ds_write_b64 v20, v[90:91] offset:26112                    // 00000000DB14: D89A6600 00005A14
	ds_write_b64 v20, v[94:95] offset:10880                    // 00000000DB1C: D89A2A80 00005E14
	ds_write_b64 v20, v[98:99] offset:28288                    // 00000000DB24: D89A6E80 00006214
	ds_write_b64 v20, v[102:103] offset:13056                  // 00000000DB2C: D89A3300 00006614
	ds_write_b64 v20, v[106:107] offset:30464                  // 00000000DB34: D89A7700 00006A14
	ds_write_b64 v20, v[110:111] offset:15232                  // 00000000DB3C: D89A3B80 00006E14
	ds_write_b64 v20, v[114:115] offset:32640                  // 00000000DB44: D89A7F80 00007214
	s_waitcnt lgkmcnt(0)                                       // 00000000DB4C: BF8CC07F
	s_barrier                                                  // 00000000DB50: BF8A0000
	ds_read_b32 v54, v21                                       // 00000000DB54: D86C0000 36000015
	ds_read_b32 v55, v21 offset:64                             // 00000000DB5C: D86C0040 37000015
	ds_read_b32 v58, v21 offset:2176                           // 00000000DB64: D86C0880 3A000015
	ds_read_b32 v59, v21 offset:2240                           // 00000000DB6C: D86C08C0 3B000015
	ds_read_b32 v62, v21 offset:4352                           // 00000000DB74: D86C1100 3E000015
	ds_read_b32 v63, v21 offset:4416                           // 00000000DB7C: D86C1140 3F000015
	ds_read_b32 v66, v21 offset:6528                           // 00000000DB84: D86C1980 42000015
	ds_read_b32 v67, v21 offset:6592                           // 00000000DB8C: D86C19C0 43000015
	ds_read_b32 v70, v21 offset:8704                           // 00000000DB94: D86C2200 46000015
	ds_read_b32 v71, v21 offset:8768                           // 00000000DB9C: D86C2240 47000015
	ds_read_b32 v74, v21 offset:10880                          // 00000000DBA4: D86C2A80 4A000015
	ds_read_b32 v75, v21 offset:10944                          // 00000000DBAC: D86C2AC0 4B000015
	ds_read_b32 v78, v21 offset:13056                          // 00000000DBB4: D86C3300 4E000015
	ds_read_b32 v79, v21 offset:13120                          // 00000000DBBC: D86C3340 4F000015
	ds_read_b32 v82, v21 offset:15232                          // 00000000DBC4: D86C3B80 52000015
	ds_read_b32 v83, v21 offset:15296                          // 00000000DBCC: D86C3BC0 53000015
	ds_read_b32 v86, v21 offset:17408                          // 00000000DBD4: D86C4400 56000015
	ds_read_b32 v87, v21 offset:17472                          // 00000000DBDC: D86C4440 57000015
	ds_read_b32 v90, v21 offset:19584                          // 00000000DBE4: D86C4C80 5A000015
	ds_read_b32 v91, v21 offset:19648                          // 00000000DBEC: D86C4CC0 5B000015
	ds_read_b32 v94, v21 offset:21760                          // 00000000DBF4: D86C5500 5E000015
	ds_read_b32 v95, v21 offset:21824                          // 00000000DBFC: D86C5540 5F000015
	ds_read_b32 v98, v21 offset:23936                          // 00000000DC04: D86C5D80 62000015
	ds_read_b32 v99, v21 offset:24000                          // 00000000DC0C: D86C5DC0 63000015
	ds_read_b32 v102, v21 offset:26112                         // 00000000DC14: D86C6600 66000015
	ds_read_b32 v103, v21 offset:26176                         // 00000000DC1C: D86C6640 67000015
	ds_read_b32 v106, v21 offset:28288                         // 00000000DC24: D86C6E80 6A000015
	ds_read_b32 v107, v21 offset:28352                         // 00000000DC2C: D86C6EC0 6B000015
	ds_read_b32 v110, v21 offset:30464                         // 00000000DC34: D86C7700 6E000015
	ds_read_b32 v111, v21 offset:30528                         // 00000000DC3C: D86C7740 6F000015
	ds_read_b32 v114, v21 offset:32640                         // 00000000DC44: D86C7F80 72000015
	ds_read_b32 v115, v21 offset:32704                         // 00000000DC4C: D86C7FC0 73000015
	s_waitcnt lgkmcnt(0)                                       // 00000000DC54: BF8CC07F
	v_mov_b32_e32 v7, 0                                        // 00000000DC58: 7E0E0280
	s_mov_b64 exec, s[36:37]                                   // 00000000DC5C: BEFE0124
	v_mov_b32_e32 v6, v39                                      // 00000000DC60: 7E0C0327
	s_mov_b64 s[60:61], 0                                      // 00000000DC64: BEBC0180
	v_readlane_b32 s82, v3, 0                                  // 00000000DC68: D2890052 00010103
	s_and_b32 s82, s82, 0xffffff                               // 00000000DC70: 8652FF52 00FFFFFF
	s_cmp_lt_u32 s82, s66                                      // 00000000DC78: BF0A4252
	s_cselect_b32 s20, s36, s60                                // 00000000DC7C: 85143C24
	v_readlane_b32 s82, v3, 1                                  // 00000000DC80: D2890052 00010303
	s_and_b32 s82, s82, 0xffffff                               // 00000000DC88: 8652FF52 00FFFFFF
	s_cmp_lt_u32 s82, s66                                      // 00000000DC90: BF0A4252
	s_cselect_b32 s21, s36, s60                                // 00000000DC94: 85153C24
	s_mov_b64 exec, s[20:21]                                   // 00000000DC98: BEFE0114
	global_atomic_add_f32 v6, v54, s[8:9] offset:8             // 00000000DC9C: DD348008 00083606
	global_atomic_add_f32 v6, v58, s[8:9] offset:264           // 00000000DCA4: DD348108 00083A06
	global_atomic_add_f32 v6, v62, s[8:9] offset:520           // 00000000DCAC: DD348208 00083E06
	global_atomic_add_f32 v6, v66, s[8:9] offset:776           // 00000000DCB4: DD348308 00084206
	global_atomic_add_f32 v6, v70, s[8:9] offset:1032          // 00000000DCBC: DD348408 00084606
	global_atomic_add_f32 v6, v74, s[8:9] offset:1288          // 00000000DCC4: DD348508 00084A06
	global_atomic_add_f32 v6, v78, s[8:9] offset:1544          // 00000000DCCC: DD348608 00084E06
	global_atomic_add_f32 v6, v82, s[8:9] offset:1800          // 00000000DCD4: DD348708 00085206
	s_mov_b64 exec, s[36:37]                                   // 00000000DCDC: BEFE0124
	v_mov_b32_e32 v6, v40                                      // 00000000DCE0: 7E0C0328
	s_mov_b64 s[60:61], 0                                      // 00000000DCE4: BEBC0180
	v_readlane_b32 s82, v3, 2                                  // 00000000DCE8: D2890052 00010503
	s_and_b32 s82, s82, 0xffffff                               // 00000000DCF0: 8652FF52 00FFFFFF
	s_cmp_lt_u32 s82, s66                                      // 00000000DCF8: BF0A4252
	s_cselect_b32 s20, s36, s60                                // 00000000DCFC: 85143C24
	v_readlane_b32 s82, v3, 3                                  // 00000000DD00: D2890052 00010703
	s_and_b32 s82, s82, 0xffffff                               // 00000000DD08: 8652FF52 00FFFFFF
	s_cmp_lt_u32 s82, s66                                      // 00000000DD10: BF0A4252
	s_cselect_b32 s21, s36, s60                                // 00000000DD14: 85153C24
	s_mov_b64 exec, s[20:21]                                   // 00000000DD18: BEFE0114
	global_atomic_add_f32 v6, v55, s[8:9] offset:8             // 00000000DD1C: DD348008 00083706
	global_atomic_add_f32 v6, v59, s[8:9] offset:264           // 00000000DD24: DD348108 00083B06
	global_atomic_add_f32 v6, v63, s[8:9] offset:520           // 00000000DD2C: DD348208 00083F06
	global_atomic_add_f32 v6, v67, s[8:9] offset:776           // 00000000DD34: DD348308 00084306
	global_atomic_add_f32 v6, v71, s[8:9] offset:1032          // 00000000DD3C: DD348408 00084706
	global_atomic_add_f32 v6, v75, s[8:9] offset:1288          // 00000000DD44: DD348508 00084B06
	global_atomic_add_f32 v6, v79, s[8:9] offset:1544          // 00000000DD4C: DD348608 00084F06
	global_atomic_add_f32 v6, v83, s[8:9] offset:1800          // 00000000DD54: DD348708 00085306
	s_mov_b64 exec, s[36:37]                                   // 00000000DD5C: BEFE0124
	v_mov_b32_e32 v6, v41                                      // 00000000DD60: 7E0C0329
	s_mov_b64 s[60:61], 0                                      // 00000000DD64: BEBC0180
	v_readlane_b32 s82, v3, 4                                  // 00000000DD68: D2890052 00010903
	s_and_b32 s82, s82, 0xffffff                               // 00000000DD70: 8652FF52 00FFFFFF
	s_cmp_lt_u32 s82, s66                                      // 00000000DD78: BF0A4252
	s_cselect_b32 s20, s36, s60                                // 00000000DD7C: 85143C24
	v_readlane_b32 s82, v3, 5                                  // 00000000DD80: D2890052 00010B03
	s_and_b32 s82, s82, 0xffffff                               // 00000000DD88: 8652FF52 00FFFFFF
	s_cmp_lt_u32 s82, s66                                      // 00000000DD90: BF0A4252
	s_cselect_b32 s21, s36, s60                                // 00000000DD94: 85153C24
	s_mov_b64 exec, s[20:21]                                   // 00000000DD98: BEFE0114
	global_atomic_add_f32 v6, v86, s[8:9] offset:8             // 00000000DD9C: DD348008 00085606
	global_atomic_add_f32 v6, v90, s[8:9] offset:264           // 00000000DDA4: DD348108 00085A06
	global_atomic_add_f32 v6, v94, s[8:9] offset:520           // 00000000DDAC: DD348208 00085E06
	global_atomic_add_f32 v6, v98, s[8:9] offset:776           // 00000000DDB4: DD348308 00086206
	global_atomic_add_f32 v6, v102, s[8:9] offset:1032         // 00000000DDBC: DD348408 00086606
	global_atomic_add_f32 v6, v106, s[8:9] offset:1288         // 00000000DDC4: DD348508 00086A06
	global_atomic_add_f32 v6, v110, s[8:9] offset:1544         // 00000000DDCC: DD348608 00086E06
	global_atomic_add_f32 v6, v114, s[8:9] offset:1800         // 00000000DDD4: DD348708 00087206
	s_mov_b64 exec, s[36:37]                                   // 00000000DDDC: BEFE0124
	v_mov_b32_e32 v6, v42                                      // 00000000DDE0: 7E0C032A
	s_mov_b64 s[60:61], 0                                      // 00000000DDE4: BEBC0180
	v_readlane_b32 s82, v3, 6                                  // 00000000DDE8: D2890052 00010D03
	s_and_b32 s82, s82, 0xffffff                               // 00000000DDF0: 8652FF52 00FFFFFF
	s_cmp_lt_u32 s82, s66                                      // 00000000DDF8: BF0A4252
	s_cselect_b32 s20, s36, s60                                // 00000000DDFC: 85143C24
	v_readlane_b32 s82, v3, 7                                  // 00000000DE00: D2890052 00010F03
	s_and_b32 s82, s82, 0xffffff                               // 00000000DE08: 8652FF52 00FFFFFF
	s_cmp_lt_u32 s82, s66                                      // 00000000DE10: BF0A4252
	s_cselect_b32 s21, s36, s60                                // 00000000DE14: 85153C24
	s_mov_b64 exec, s[20:21]                                   // 00000000DE18: BEFE0114
	global_atomic_add_f32 v6, v87, s[8:9] offset:8             // 00000000DE1C: DD348008 00085706
	global_atomic_add_f32 v6, v91, s[8:9] offset:264           // 00000000DE24: DD348108 00085B06
	global_atomic_add_f32 v6, v95, s[8:9] offset:520           // 00000000DE2C: DD348208 00085F06
	global_atomic_add_f32 v6, v99, s[8:9] offset:776           // 00000000DE34: DD348308 00086306
	global_atomic_add_f32 v6, v103, s[8:9] offset:1032         // 00000000DE3C: DD348408 00086706
	global_atomic_add_f32 v6, v107, s[8:9] offset:1288         // 00000000DE44: DD348508 00086B06
	global_atomic_add_f32 v6, v111, s[8:9] offset:1544         // 00000000DE4C: DD348608 00086F06
	global_atomic_add_f32 v6, v115, s[8:9] offset:1800         // 00000000DE54: DD348708 00087306
	s_mov_b64 exec, s[36:37]                                   // 00000000DE5C: BEFE0124
	ds_write_b64 v20, v[116:117]                               // 00000000DE60: D89A0000 00007414
	ds_write_b64 v20, v[120:121] offset:17408                  // 00000000DE68: D89A4400 00007814
	ds_write_b64 v20, v[124:125] offset:2176                   // 00000000DE70: D89A0880 00007C14
	ds_write_b64 v20, v[128:129] offset:19584                  // 00000000DE78: D89A4C80 00008014
	ds_write_b64 v20, v[132:133] offset:4352                   // 00000000DE80: D89A1100 00008414
	ds_write_b64 v20, v[136:137] offset:21760                  // 00000000DE88: D89A5500 00008814
	ds_write_b64 v20, v[140:141] offset:6528                   // 00000000DE90: D89A1980 00008C14
	ds_write_b64 v20, v[144:145] offset:23936                  // 00000000DE98: D89A5D80 00009014
	ds_write_b64 v20, v[148:149] offset:8704                   // 00000000DEA0: D89A2200 00009414
	ds_write_b64 v20, v[152:153] offset:26112                  // 00000000DEA8: D89A6600 00009814
	ds_write_b64 v20, v[156:157] offset:10880                  // 00000000DEB0: D89A2A80 00009C14
	ds_write_b64 v20, v[160:161] offset:28288                  // 00000000DEB8: D89A6E80 0000A014
	ds_write_b64 v20, v[164:165] offset:13056                  // 00000000DEC0: D89A3300 0000A414
	ds_write_b64 v20, v[168:169] offset:30464                  // 00000000DEC8: D89A7700 0000A814
	ds_write_b64 v20, v[172:173] offset:15232                  // 00000000DED0: D89A3B80 0000AC14
	ds_write_b64 v20, v[176:177] offset:32640                  // 00000000DED8: D89A7F80 0000B014
	s_waitcnt lgkmcnt(0)                                       // 00000000DEE0: BF8CC07F
	s_barrier                                                  // 00000000DEE4: BF8A0000
	ds_read_b32 v116, v21                                      // 00000000DEE8: D86C0000 74000015
	ds_read_b32 v117, v21 offset:64                            // 00000000DEF0: D86C0040 75000015
	ds_read_b32 v120, v21 offset:2176                          // 00000000DEF8: D86C0880 78000015
	ds_read_b32 v121, v21 offset:2240                          // 00000000DF00: D86C08C0 79000015
	ds_read_b32 v124, v21 offset:4352                          // 00000000DF08: D86C1100 7C000015
	ds_read_b32 v125, v21 offset:4416                          // 00000000DF10: D86C1140 7D000015
	ds_read_b32 v128, v21 offset:6528                          // 00000000DF18: D86C1980 80000015
	ds_read_b32 v129, v21 offset:6592                          // 00000000DF20: D86C19C0 81000015
	ds_read_b32 v132, v21 offset:8704                          // 00000000DF28: D86C2200 84000015
	ds_read_b32 v133, v21 offset:8768                          // 00000000DF30: D86C2240 85000015
	ds_read_b32 v136, v21 offset:10880                         // 00000000DF38: D86C2A80 88000015
	ds_read_b32 v137, v21 offset:10944                         // 00000000DF40: D86C2AC0 89000015
	ds_read_b32 v140, v21 offset:13056                         // 00000000DF48: D86C3300 8C000015
	ds_read_b32 v141, v21 offset:13120                         // 00000000DF50: D86C3340 8D000015
	ds_read_b32 v144, v21 offset:15232                         // 00000000DF58: D86C3B80 90000015
	ds_read_b32 v145, v21 offset:15296                         // 00000000DF60: D86C3BC0 91000015
	ds_read_b32 v148, v21 offset:17408                         // 00000000DF68: D86C4400 94000015
	ds_read_b32 v149, v21 offset:17472                         // 00000000DF70: D86C4440 95000015
	ds_read_b32 v152, v21 offset:19584                         // 00000000DF78: D86C4C80 98000015
	ds_read_b32 v153, v21 offset:19648                         // 00000000DF80: D86C4CC0 99000015
	ds_read_b32 v156, v21 offset:21760                         // 00000000DF88: D86C5500 9C000015
	ds_read_b32 v157, v21 offset:21824                         // 00000000DF90: D86C5540 9D000015
	ds_read_b32 v160, v21 offset:23936                         // 00000000DF98: D86C5D80 A0000015
	ds_read_b32 v161, v21 offset:24000                         // 00000000DFA0: D86C5DC0 A1000015
	ds_read_b32 v164, v21 offset:26112                         // 00000000DFA8: D86C6600 A4000015
	ds_read_b32 v165, v21 offset:26176                         // 00000000DFB0: D86C6640 A5000015
	ds_read_b32 v168, v21 offset:28288                         // 00000000DFB8: D86C6E80 A8000015
	ds_read_b32 v169, v21 offset:28352                         // 00000000DFC0: D86C6EC0 A9000015
	ds_read_b32 v172, v21 offset:30464                         // 00000000DFC8: D86C7700 AC000015
	ds_read_b32 v173, v21 offset:30528                         // 00000000DFD0: D86C7740 AD000015
	ds_read_b32 v176, v21 offset:32640                         // 00000000DFD8: D86C7F80 B0000015
	ds_read_b32 v177, v21 offset:32704                         // 00000000DFE0: D86C7FC0 B1000015
	s_mul_i32 s60, s65, 4                                      // 00000000DFE8: 923C8441
	s_add_u32 s8, s60, s8                                      // 00000000DFEC: 8008083C
	s_addc_u32 s9, 0, s9                                       // 00000000DFF0: 82090980
	s_waitcnt lgkmcnt(0)                                       // 00000000DFF4: BF8CC07F
	v_mov_b32_e32 v7, 0                                        // 00000000DFF8: 7E0E0280
	s_mov_b64 exec, s[36:37]                                   // 00000000DFFC: BEFE0124
	v_mov_b32_e32 v6, v39                                      // 00000000E000: 7E0C0327
	s_mov_b64 s[60:61], 0                                      // 00000000E004: BEBC0180
	v_readlane_b32 s82, v3, 0                                  // 00000000E008: D2890052 00010103
	s_and_b32 s82, s82, 0xffffff                               // 00000000E010: 8652FF52 00FFFFFF
	s_cmp_lt_u32 s82, s66                                      // 00000000E018: BF0A4252
	s_cselect_b32 s20, s36, s60                                // 00000000E01C: 85143C24
	v_readlane_b32 s82, v3, 1                                  // 00000000E020: D2890052 00010303
	s_and_b32 s82, s82, 0xffffff                               // 00000000E028: 8652FF52 00FFFFFF
	s_cmp_lt_u32 s82, s66                                      // 00000000E030: BF0A4252
	s_cselect_b32 s21, s36, s60                                // 00000000E034: 85153C24
	s_mov_b64 exec, s[20:21]                                   // 00000000E038: BEFE0114
	global_atomic_add_f32 v6, v116, s[8:9]                     // 00000000E03C: DD348000 00087406
	global_atomic_add_f32 v6, v120, s[8:9] offset:256          // 00000000E044: DD348100 00087806
	global_atomic_add_f32 v6, v124, s[8:9] offset:512          // 00000000E04C: DD348200 00087C06
	global_atomic_add_f32 v6, v128, s[8:9] offset:768          // 00000000E054: DD348300 00088006
	global_atomic_add_f32 v6, v132, s[8:9] offset:1024         // 00000000E05C: DD348400 00088406
	global_atomic_add_f32 v6, v136, s[8:9] offset:1280         // 00000000E064: DD348500 00088806
	global_atomic_add_f32 v6, v140, s[8:9] offset:1536         // 00000000E06C: DD348600 00088C06
	global_atomic_add_f32 v6, v144, s[8:9] offset:1792         // 00000000E074: DD348700 00089006
	s_mov_b64 exec, s[36:37]                                   // 00000000E07C: BEFE0124
	v_mov_b32_e32 v6, v40                                      // 00000000E080: 7E0C0328
	s_mov_b64 s[60:61], 0                                      // 00000000E084: BEBC0180
	v_readlane_b32 s82, v3, 2                                  // 00000000E088: D2890052 00010503
	s_and_b32 s82, s82, 0xffffff                               // 00000000E090: 8652FF52 00FFFFFF
	s_cmp_lt_u32 s82, s66                                      // 00000000E098: BF0A4252
	s_cselect_b32 s20, s36, s60                                // 00000000E09C: 85143C24
	v_readlane_b32 s82, v3, 3                                  // 00000000E0A0: D2890052 00010703
	s_and_b32 s82, s82, 0xffffff                               // 00000000E0A8: 8652FF52 00FFFFFF
	s_cmp_lt_u32 s82, s66                                      // 00000000E0B0: BF0A4252
	s_cselect_b32 s21, s36, s60                                // 00000000E0B4: 85153C24
	s_mov_b64 exec, s[20:21]                                   // 00000000E0B8: BEFE0114
	global_atomic_add_f32 v6, v117, s[8:9]                     // 00000000E0BC: DD348000 00087506
	global_atomic_add_f32 v6, v121, s[8:9] offset:256          // 00000000E0C4: DD348100 00087906
	global_atomic_add_f32 v6, v125, s[8:9] offset:512          // 00000000E0CC: DD348200 00087D06
	global_atomic_add_f32 v6, v129, s[8:9] offset:768          // 00000000E0D4: DD348300 00088106
	global_atomic_add_f32 v6, v133, s[8:9] offset:1024         // 00000000E0DC: DD348400 00088506
	global_atomic_add_f32 v6, v137, s[8:9] offset:1280         // 00000000E0E4: DD348500 00088906
	global_atomic_add_f32 v6, v141, s[8:9] offset:1536         // 00000000E0EC: DD348600 00088D06
	global_atomic_add_f32 v6, v145, s[8:9] offset:1792         // 00000000E0F4: DD348700 00089106
	s_mov_b64 exec, s[36:37]                                   // 00000000E0FC: BEFE0124
	v_mov_b32_e32 v6, v41                                      // 00000000E100: 7E0C0329
	s_mov_b64 s[60:61], 0                                      // 00000000E104: BEBC0180
	v_readlane_b32 s82, v3, 4                                  // 00000000E108: D2890052 00010903
	s_and_b32 s82, s82, 0xffffff                               // 00000000E110: 8652FF52 00FFFFFF
	s_cmp_lt_u32 s82, s66                                      // 00000000E118: BF0A4252
	s_cselect_b32 s20, s36, s60                                // 00000000E11C: 85143C24
	v_readlane_b32 s82, v3, 5                                  // 00000000E120: D2890052 00010B03
	s_and_b32 s82, s82, 0xffffff                               // 00000000E128: 8652FF52 00FFFFFF
	s_cmp_lt_u32 s82, s66                                      // 00000000E130: BF0A4252
	s_cselect_b32 s21, s36, s60                                // 00000000E134: 85153C24
	s_mov_b64 exec, s[20:21]                                   // 00000000E138: BEFE0114
	global_atomic_add_f32 v6, v148, s[8:9]                     // 00000000E13C: DD348000 00089406
	global_atomic_add_f32 v6, v152, s[8:9] offset:256          // 00000000E144: DD348100 00089806
	global_atomic_add_f32 v6, v156, s[8:9] offset:512          // 00000000E14C: DD348200 00089C06
	global_atomic_add_f32 v6, v160, s[8:9] offset:768          // 00000000E154: DD348300 0008A006
	global_atomic_add_f32 v6, v164, s[8:9] offset:1024         // 00000000E15C: DD348400 0008A406
	global_atomic_add_f32 v6, v168, s[8:9] offset:1280         // 00000000E164: DD348500 0008A806
	global_atomic_add_f32 v6, v172, s[8:9] offset:1536         // 00000000E16C: DD348600 0008AC06
	global_atomic_add_f32 v6, v176, s[8:9] offset:1792         // 00000000E174: DD348700 0008B006
	s_mov_b64 exec, s[36:37]                                   // 00000000E17C: BEFE0124
	v_mov_b32_e32 v6, v42                                      // 00000000E180: 7E0C032A
	s_mov_b64 s[60:61], 0                                      // 00000000E184: BEBC0180
	v_readlane_b32 s82, v3, 6                                  // 00000000E188: D2890052 00010D03
	s_and_b32 s82, s82, 0xffffff                               // 00000000E190: 8652FF52 00FFFFFF
	s_cmp_lt_u32 s82, s66                                      // 00000000E198: BF0A4252
	s_cselect_b32 s20, s36, s60                                // 00000000E19C: 85143C24
	v_readlane_b32 s82, v3, 7                                  // 00000000E1A0: D2890052 00010F03
	s_and_b32 s82, s82, 0xffffff                               // 00000000E1A8: 8652FF52 00FFFFFF
	s_cmp_lt_u32 s82, s66                                      // 00000000E1B0: BF0A4252
	s_cselect_b32 s21, s36, s60                                // 00000000E1B4: 85153C24
	s_mov_b64 exec, s[20:21]                                   // 00000000E1B8: BEFE0114
	global_atomic_add_f32 v6, v149, s[8:9]                     // 00000000E1BC: DD348000 00089506
	global_atomic_add_f32 v6, v153, s[8:9] offset:256          // 00000000E1C4: DD348100 00089906
	global_atomic_add_f32 v6, v157, s[8:9] offset:512          // 00000000E1CC: DD348200 00089D06
	global_atomic_add_f32 v6, v161, s[8:9] offset:768          // 00000000E1D4: DD348300 0008A106
	global_atomic_add_f32 v6, v165, s[8:9] offset:1024         // 00000000E1DC: DD348400 0008A506
	global_atomic_add_f32 v6, v169, s[8:9] offset:1280         // 00000000E1E4: DD348500 0008A906
	global_atomic_add_f32 v6, v173, s[8:9] offset:1536         // 00000000E1EC: DD348600 0008AD06
	global_atomic_add_f32 v6, v177, s[8:9] offset:1792         // 00000000E1F4: DD348700 0008B106
	s_mov_b64 exec, s[36:37]                                   // 00000000E1FC: BEFE0124
	ds_write_b64 v20, v[118:119]                               // 00000000E200: D89A0000 00007614
	ds_write_b64 v20, v[122:123] offset:17408                  // 00000000E208: D89A4400 00007A14
	ds_write_b64 v20, v[126:127] offset:2176                   // 00000000E210: D89A0880 00007E14
	ds_write_b64 v20, v[130:131] offset:19584                  // 00000000E218: D89A4C80 00008214
	ds_write_b64 v20, v[134:135] offset:4352                   // 00000000E220: D89A1100 00008614
	ds_write_b64 v20, v[138:139] offset:21760                  // 00000000E228: D89A5500 00008A14
	ds_write_b64 v20, v[142:143] offset:6528                   // 00000000E230: D89A1980 00008E14
	ds_write_b64 v20, v[146:147] offset:23936                  // 00000000E238: D89A5D80 00009214
	ds_write_b64 v20, v[150:151] offset:8704                   // 00000000E240: D89A2200 00009614
	ds_write_b64 v20, v[154:155] offset:26112                  // 00000000E248: D89A6600 00009A14
	ds_write_b64 v20, v[158:159] offset:10880                  // 00000000E250: D89A2A80 00009E14
	ds_write_b64 v20, v[162:163] offset:28288                  // 00000000E258: D89A6E80 0000A214
	ds_write_b64 v20, v[166:167] offset:13056                  // 00000000E260: D89A3300 0000A614
	ds_write_b64 v20, v[170:171] offset:30464                  // 00000000E268: D89A7700 0000AA14
	ds_write_b64 v20, v[174:175] offset:15232                  // 00000000E270: D89A3B80 0000AE14
	ds_write_b64 v20, v[178:179] offset:32640                  // 00000000E278: D89A7F80 0000B214
	s_waitcnt lgkmcnt(0)                                       // 00000000E280: BF8CC07F
	s_barrier                                                  // 00000000E284: BF8A0000
	ds_read_b32 v118, v21                                      // 00000000E288: D86C0000 76000015
	ds_read_b32 v119, v21 offset:64                            // 00000000E290: D86C0040 77000015
	ds_read_b32 v122, v21 offset:2176                          // 00000000E298: D86C0880 7A000015
	ds_read_b32 v123, v21 offset:2240                          // 00000000E2A0: D86C08C0 7B000015
	ds_read_b32 v126, v21 offset:4352                          // 00000000E2A8: D86C1100 7E000015
	ds_read_b32 v127, v21 offset:4416                          // 00000000E2B0: D86C1140 7F000015
	ds_read_b32 v130, v21 offset:6528                          // 00000000E2B8: D86C1980 82000015
	ds_read_b32 v131, v21 offset:6592                          // 00000000E2C0: D86C19C0 83000015
	ds_read_b32 v134, v21 offset:8704                          // 00000000E2C8: D86C2200 86000015
	ds_read_b32 v135, v21 offset:8768                          // 00000000E2D0: D86C2240 87000015
	ds_read_b32 v138, v21 offset:10880                         // 00000000E2D8: D86C2A80 8A000015
	ds_read_b32 v139, v21 offset:10944                         // 00000000E2E0: D86C2AC0 8B000015
	ds_read_b32 v142, v21 offset:13056                         // 00000000E2E8: D86C3300 8E000015
	ds_read_b32 v143, v21 offset:13120                         // 00000000E2F0: D86C3340 8F000015
	ds_read_b32 v146, v21 offset:15232                         // 00000000E2F8: D86C3B80 92000015
	ds_read_b32 v147, v21 offset:15296                         // 00000000E300: D86C3BC0 93000015
	ds_read_b32 v150, v21 offset:17408                         // 00000000E308: D86C4400 96000015
	ds_read_b32 v151, v21 offset:17472                         // 00000000E310: D86C4440 97000015
	ds_read_b32 v154, v21 offset:19584                         // 00000000E318: D86C4C80 9A000015
	ds_read_b32 v155, v21 offset:19648                         // 00000000E320: D86C4CC0 9B000015
	ds_read_b32 v158, v21 offset:21760                         // 00000000E328: D86C5500 9E000015
	ds_read_b32 v159, v21 offset:21824                         // 00000000E330: D86C5540 9F000015
	ds_read_b32 v162, v21 offset:23936                         // 00000000E338: D86C5D80 A2000015
	ds_read_b32 v163, v21 offset:24000                         // 00000000E340: D86C5DC0 A3000015
	ds_read_b32 v166, v21 offset:26112                         // 00000000E348: D86C6600 A6000015
	ds_read_b32 v167, v21 offset:26176                         // 00000000E350: D86C6640 A7000015
	ds_read_b32 v170, v21 offset:28288                         // 00000000E358: D86C6E80 AA000015
	ds_read_b32 v171, v21 offset:28352                         // 00000000E360: D86C6EC0 AB000015
	ds_read_b32 v174, v21 offset:30464                         // 00000000E368: D86C7700 AE000015
	ds_read_b32 v175, v21 offset:30528                         // 00000000E370: D86C7740 AF000015
	ds_read_b32 v178, v21 offset:32640                         // 00000000E378: D86C7F80 B2000015
	ds_read_b32 v179, v21 offset:32704                         // 00000000E380: D86C7FC0 B3000015
	s_waitcnt lgkmcnt(0)                                       // 00000000E388: BF8CC07F
	v_mov_b32_e32 v7, 0                                        // 00000000E38C: 7E0E0280
	s_mov_b64 exec, s[36:37]                                   // 00000000E390: BEFE0124
	v_mov_b32_e32 v6, v39                                      // 00000000E394: 7E0C0327
	s_mov_b64 s[60:61], 0                                      // 00000000E398: BEBC0180
	v_readlane_b32 s82, v3, 0                                  // 00000000E39C: D2890052 00010103
	s_and_b32 s82, s82, 0xffffff                               // 00000000E3A4: 8652FF52 00FFFFFF
	s_cmp_lt_u32 s82, s66                                      // 00000000E3AC: BF0A4252
	s_cselect_b32 s20, s36, s60                                // 00000000E3B0: 85143C24
	v_readlane_b32 s82, v3, 1                                  // 00000000E3B4: D2890052 00010303
	s_and_b32 s82, s82, 0xffffff                               // 00000000E3BC: 8652FF52 00FFFFFF
	s_cmp_lt_u32 s82, s66                                      // 00000000E3C4: BF0A4252
	s_cselect_b32 s21, s36, s60                                // 00000000E3C8: 85153C24
	s_mov_b64 exec, s[20:21]                                   // 00000000E3CC: BEFE0114
	global_atomic_add_f32 v6, v118, s[8:9] offset:8            // 00000000E3D0: DD348008 00087606
	global_atomic_add_f32 v6, v122, s[8:9] offset:264          // 00000000E3D8: DD348108 00087A06
	global_atomic_add_f32 v6, v126, s[8:9] offset:520          // 00000000E3E0: DD348208 00087E06
	global_atomic_add_f32 v6, v130, s[8:9] offset:776          // 00000000E3E8: DD348308 00088206
	global_atomic_add_f32 v6, v134, s[8:9] offset:1032         // 00000000E3F0: DD348408 00088606
	global_atomic_add_f32 v6, v138, s[8:9] offset:1288         // 00000000E3F8: DD348508 00088A06
	global_atomic_add_f32 v6, v142, s[8:9] offset:1544         // 00000000E400: DD348608 00088E06
	global_atomic_add_f32 v6, v146, s[8:9] offset:1800         // 00000000E408: DD348708 00089206
	s_mov_b64 exec, s[36:37]                                   // 00000000E410: BEFE0124
	v_mov_b32_e32 v6, v40                                      // 00000000E414: 7E0C0328
	s_mov_b64 s[60:61], 0                                      // 00000000E418: BEBC0180
	v_readlane_b32 s82, v3, 2                                  // 00000000E41C: D2890052 00010503
	s_and_b32 s82, s82, 0xffffff                               // 00000000E424: 8652FF52 00FFFFFF
	s_cmp_lt_u32 s82, s66                                      // 00000000E42C: BF0A4252
	s_cselect_b32 s20, s36, s60                                // 00000000E430: 85143C24
	v_readlane_b32 s82, v3, 3                                  // 00000000E434: D2890052 00010703
	s_and_b32 s82, s82, 0xffffff                               // 00000000E43C: 8652FF52 00FFFFFF
	s_cmp_lt_u32 s82, s66                                      // 00000000E444: BF0A4252
	s_cselect_b32 s21, s36, s60                                // 00000000E448: 85153C24
	s_mov_b64 exec, s[20:21]                                   // 00000000E44C: BEFE0114
	global_atomic_add_f32 v6, v119, s[8:9] offset:8            // 00000000E450: DD348008 00087706
	global_atomic_add_f32 v6, v123, s[8:9] offset:264          // 00000000E458: DD348108 00087B06
	global_atomic_add_f32 v6, v127, s[8:9] offset:520          // 00000000E460: DD348208 00087F06
	global_atomic_add_f32 v6, v131, s[8:9] offset:776          // 00000000E468: DD348308 00088306
	global_atomic_add_f32 v6, v135, s[8:9] offset:1032         // 00000000E470: DD348408 00088706
	global_atomic_add_f32 v6, v139, s[8:9] offset:1288         // 00000000E478: DD348508 00088B06
	global_atomic_add_f32 v6, v143, s[8:9] offset:1544         // 00000000E480: DD348608 00088F06
	global_atomic_add_f32 v6, v147, s[8:9] offset:1800         // 00000000E488: DD348708 00089306
	s_mov_b64 exec, s[36:37]                                   // 00000000E490: BEFE0124
	v_mov_b32_e32 v6, v41                                      // 00000000E494: 7E0C0329
	s_mov_b64 s[60:61], 0                                      // 00000000E498: BEBC0180
	v_readlane_b32 s82, v3, 4                                  // 00000000E49C: D2890052 00010903
	s_and_b32 s82, s82, 0xffffff                               // 00000000E4A4: 8652FF52 00FFFFFF
	s_cmp_lt_u32 s82, s66                                      // 00000000E4AC: BF0A4252
	s_cselect_b32 s20, s36, s60                                // 00000000E4B0: 85143C24
	v_readlane_b32 s82, v3, 5                                  // 00000000E4B4: D2890052 00010B03
	s_and_b32 s82, s82, 0xffffff                               // 00000000E4BC: 8652FF52 00FFFFFF
	s_cmp_lt_u32 s82, s66                                      // 00000000E4C4: BF0A4252
	s_cselect_b32 s21, s36, s60                                // 00000000E4C8: 85153C24
	s_mov_b64 exec, s[20:21]                                   // 00000000E4CC: BEFE0114
	global_atomic_add_f32 v6, v150, s[8:9] offset:8            // 00000000E4D0: DD348008 00089606
	global_atomic_add_f32 v6, v154, s[8:9] offset:264          // 00000000E4D8: DD348108 00089A06
	global_atomic_add_f32 v6, v158, s[8:9] offset:520          // 00000000E4E0: DD348208 00089E06
	global_atomic_add_f32 v6, v162, s[8:9] offset:776          // 00000000E4E8: DD348308 0008A206
	global_atomic_add_f32 v6, v166, s[8:9] offset:1032         // 00000000E4F0: DD348408 0008A606
	global_atomic_add_f32 v6, v170, s[8:9] offset:1288         // 00000000E4F8: DD348508 0008AA06
	global_atomic_add_f32 v6, v174, s[8:9] offset:1544         // 00000000E500: DD348608 0008AE06
	global_atomic_add_f32 v6, v178, s[8:9] offset:1800         // 00000000E508: DD348708 0008B206
	s_mov_b64 exec, s[36:37]                                   // 00000000E510: BEFE0124
	v_mov_b32_e32 v6, v42                                      // 00000000E514: 7E0C032A
	s_mov_b64 s[60:61], 0                                      // 00000000E518: BEBC0180
	v_readlane_b32 s82, v3, 6                                  // 00000000E51C: D2890052 00010D03
	s_and_b32 s82, s82, 0xffffff                               // 00000000E524: 8652FF52 00FFFFFF
	s_cmp_lt_u32 s82, s66                                      // 00000000E52C: BF0A4252
	s_cselect_b32 s20, s36, s60                                // 00000000E530: 85143C24
	v_readlane_b32 s82, v3, 7                                  // 00000000E534: D2890052 00010F03
	s_and_b32 s82, s82, 0xffffff                               // 00000000E53C: 8652FF52 00FFFFFF
	s_cmp_lt_u32 s82, s66                                      // 00000000E544: BF0A4252
	s_cselect_b32 s21, s36, s60                                // 00000000E548: 85153C24
	s_mov_b64 exec, s[20:21]                                   // 00000000E54C: BEFE0114
	global_atomic_add_f32 v6, v151, s[8:9] offset:8            // 00000000E550: DD348008 00089706
	global_atomic_add_f32 v6, v155, s[8:9] offset:264          // 00000000E558: DD348108 00089B06
	global_atomic_add_f32 v6, v159, s[8:9] offset:520          // 00000000E560: DD348208 00089F06
	global_atomic_add_f32 v6, v163, s[8:9] offset:776          // 00000000E568: DD348308 0008A306
	global_atomic_add_f32 v6, v167, s[8:9] offset:1032         // 00000000E570: DD348408 0008A706
	global_atomic_add_f32 v6, v171, s[8:9] offset:1288         // 00000000E578: DD348508 0008AB06
	global_atomic_add_f32 v6, v175, s[8:9] offset:1544         // 00000000E580: DD348608 0008AF06
	global_atomic_add_f32 v6, v179, s[8:9] offset:1800         // 00000000E588: DD348708 0008B306
	s_mov_b64 exec, s[36:37]                                   // 00000000E590: BEFE0124
	s_branch label_2EE9                                        // 00000000E594: BF820000

000000000000e598 <label_2EE9>:
	s_waitcnt vmcnt(0) expcnt(0) lgkmcnt(0)                    // 00000000E598: BF8C0000
	s_endpgm                                                   // 00000000E59C: BF810000
